;; amdgpu-corpus repo=ROCm/rocFFT kind=compiled arch=gfx950 opt=O3
	.text
	.amdgcn_target "amdgcn-amd-amdhsa--gfx950"
	.amdhsa_code_object_version 6
	.protected	fft_rtc_fwd_len1377_factors_17_3_9_3_wgs_51_tpt_51_halfLds_sp_op_CI_CI_unitstride_sbrr_dirReg ; -- Begin function fft_rtc_fwd_len1377_factors_17_3_9_3_wgs_51_tpt_51_halfLds_sp_op_CI_CI_unitstride_sbrr_dirReg
	.globl	fft_rtc_fwd_len1377_factors_17_3_9_3_wgs_51_tpt_51_halfLds_sp_op_CI_CI_unitstride_sbrr_dirReg
	.p2align	8
	.type	fft_rtc_fwd_len1377_factors_17_3_9_3_wgs_51_tpt_51_halfLds_sp_op_CI_CI_unitstride_sbrr_dirReg,@function
fft_rtc_fwd_len1377_factors_17_3_9_3_wgs_51_tpt_51_halfLds_sp_op_CI_CI_unitstride_sbrr_dirReg: ; @fft_rtc_fwd_len1377_factors_17_3_9_3_wgs_51_tpt_51_halfLds_sp_op_CI_CI_unitstride_sbrr_dirReg
; %bb.0:
	s_load_dwordx4 s[4:7], s[0:1], 0x58
                                        ; implicit-def: $vgpr198 : SGPR spill to VGPR lane
	v_mul_u32_u24_e32 v1, 0x506, v0
	v_add_u32_sdwa v8, s2, v1 dst_sel:DWORD dst_unused:UNUSED_PAD src0_sel:DWORD src1_sel:WORD_1
	v_mov_b32_e32 v6, 0
	v_mov_b32_e32 v9, v6
	s_waitcnt lgkmcnt(0)
	v_writelane_b32 v198, s4, 0
	v_mov_b64_e32 v[74:75], 0
	s_nop 0
	v_writelane_b32 v198, s5, 1
	v_writelane_b32 v198, s6, 2
	;; [unrolled: 1-line block ×3, first 2 shown]
	s_load_dwordx4 s[4:7], s[0:1], 0x0
	s_load_dwordx4 s[12:15], s[0:1], 0x18
	s_waitcnt lgkmcnt(0)
	v_writelane_b32 v198, s4, 4
	s_nop 1
	v_writelane_b32 v198, s5, 5
	v_cmp_lt_u64_e64 s[2:3], s[6:7], 2
	v_writelane_b32 v198, s6, 6
	s_and_b64 vcc, exec, s[2:3]
	v_writelane_b32 v198, s7, 7
	s_cbranch_vccnz .LBB0_8
; %bb.1:
	s_load_dwordx2 s[2:3], s[0:1], 0x10
	s_add_u32 s4, s14, 8
	s_addc_u32 s5, s15, 0
	s_add_u32 s6, s12, 8
	s_addc_u32 s7, s13, 0
	s_waitcnt lgkmcnt(0)
	s_add_u32 s8, s2, 8
	v_mov_b64_e32 v[74:75], 0
	s_addc_u32 s9, s3, 0
	s_mov_b64 s[10:11], 1
	v_mov_b64_e32 v[2:3], v[74:75]
.LBB0_2:                                ; =>This Inner Loop Header: Depth=1
	s_load_dwordx2 s[16:17], s[8:9], 0x0
                                        ; implicit-def: $vgpr4_vgpr5
	s_waitcnt lgkmcnt(0)
	v_or_b32_e32 v7, s17, v9
	v_cmp_ne_u64_e32 vcc, 0, v[6:7]
	s_and_saveexec_b64 s[2:3], vcc
	s_xor_b64 s[18:19], exec, s[2:3]
	s_cbranch_execz .LBB0_4
; %bb.3:                                ;   in Loop: Header=BB0_2 Depth=1
	v_cvt_f32_u32_e32 v1, s16
	v_cvt_f32_u32_e32 v4, s17
	s_sub_u32 s2, 0, s16
	s_subb_u32 s3, 0, s17
	v_fmac_f32_e32 v1, 0x4f800000, v4
	v_rcp_f32_e32 v1, v1
	s_nop 0
	v_mul_f32_e32 v1, 0x5f7ffffc, v1
	v_mul_f32_e32 v4, 0x2f800000, v1
	v_trunc_f32_e32 v4, v4
	v_fmac_f32_e32 v1, 0xcf800000, v4
	v_cvt_u32_f32_e32 v7, v4
	v_cvt_u32_f32_e32 v1, v1
	v_mul_lo_u32 v4, s2, v7
	v_mul_hi_u32 v10, s2, v1
	v_mul_lo_u32 v5, s3, v1
	v_add_u32_e32 v10, v10, v4
	v_mul_lo_u32 v12, s2, v1
	v_add_u32_e32 v13, v10, v5
	v_mul_hi_u32 v4, v1, v12
	v_mul_hi_u32 v11, v1, v13
	v_mul_lo_u32 v10, v1, v13
	v_mov_b32_e32 v5, v6
	v_lshl_add_u64 v[4:5], v[4:5], 0, v[10:11]
	v_mul_hi_u32 v11, v7, v12
	v_mul_lo_u32 v12, v7, v12
	v_add_co_u32_e32 v4, vcc, v4, v12
	v_mul_hi_u32 v10, v7, v13
	s_nop 0
	v_addc_co_u32_e32 v4, vcc, v5, v11, vcc
	v_mov_b32_e32 v5, v6
	s_nop 0
	v_addc_co_u32_e32 v11, vcc, 0, v10, vcc
	v_mul_lo_u32 v10, v7, v13
	v_lshl_add_u64 v[4:5], v[4:5], 0, v[10:11]
	v_add_co_u32_e32 v1, vcc, v1, v4
	v_mul_lo_u32 v10, s2, v1
	s_nop 0
	v_addc_co_u32_e32 v7, vcc, v7, v5, vcc
	v_mul_lo_u32 v4, s2, v7
	v_mul_hi_u32 v5, s2, v1
	v_add_u32_e32 v4, v5, v4
	v_mul_lo_u32 v5, s3, v1
	v_add_u32_e32 v12, v4, v5
	v_mul_hi_u32 v14, v7, v10
	v_mul_lo_u32 v15, v7, v10
	v_mul_hi_u32 v5, v1, v12
	v_mul_lo_u32 v4, v1, v12
	v_mul_hi_u32 v10, v1, v10
	v_mov_b32_e32 v11, v6
	v_lshl_add_u64 v[4:5], v[10:11], 0, v[4:5]
	v_add_co_u32_e32 v4, vcc, v4, v15
	v_mul_hi_u32 v13, v7, v12
	s_nop 0
	v_addc_co_u32_e32 v4, vcc, v5, v14, vcc
	v_mul_lo_u32 v10, v7, v12
	s_nop 0
	v_addc_co_u32_e32 v11, vcc, 0, v13, vcc
	v_mov_b32_e32 v5, v6
	v_lshl_add_u64 v[4:5], v[4:5], 0, v[10:11]
	v_add_co_u32_e32 v1, vcc, v1, v4
	v_mul_hi_u32 v10, v8, v1
	s_nop 0
	v_addc_co_u32_e32 v7, vcc, v7, v5, vcc
	v_mad_u64_u32 v[4:5], s[2:3], v8, v7, 0
	v_mov_b32_e32 v11, v6
	v_lshl_add_u64 v[4:5], v[10:11], 0, v[4:5]
	v_mad_u64_u32 v[12:13], s[2:3], v9, v1, 0
	v_add_co_u32_e32 v1, vcc, v4, v12
	v_mad_u64_u32 v[10:11], s[2:3], v9, v7, 0
	s_nop 0
	v_addc_co_u32_e32 v4, vcc, v5, v13, vcc
	v_mov_b32_e32 v5, v6
	s_nop 0
	v_addc_co_u32_e32 v11, vcc, 0, v11, vcc
	v_lshl_add_u64 v[4:5], v[4:5], 0, v[10:11]
	v_mul_lo_u32 v1, s17, v4
	v_mul_lo_u32 v7, s16, v5
	v_mad_u64_u32 v[10:11], s[2:3], s16, v4, 0
	v_add3_u32 v1, v11, v7, v1
	v_sub_u32_e32 v7, v9, v1
	v_mov_b32_e32 v11, s17
	v_sub_co_u32_e32 v14, vcc, v8, v10
	v_lshl_add_u64 v[12:13], v[4:5], 0, 1
	s_nop 0
	v_subb_co_u32_e64 v7, s[2:3], v7, v11, vcc
	v_subrev_co_u32_e64 v10, s[2:3], s16, v14
	v_subb_co_u32_e32 v1, vcc, v9, v1, vcc
	s_nop 0
	v_subbrev_co_u32_e64 v7, s[2:3], 0, v7, s[2:3]
	v_cmp_le_u32_e64 s[2:3], s17, v7
	v_cmp_le_u32_e32 vcc, s17, v1
	s_nop 0
	v_cndmask_b32_e64 v11, 0, -1, s[2:3]
	v_cmp_le_u32_e64 s[2:3], s16, v10
	s_nop 1
	v_cndmask_b32_e64 v10, 0, -1, s[2:3]
	v_cmp_eq_u32_e64 s[2:3], s17, v7
	s_nop 1
	v_cndmask_b32_e64 v7, v11, v10, s[2:3]
	v_lshl_add_u64 v[10:11], v[4:5], 0, 2
	v_cmp_ne_u32_e64 s[2:3], 0, v7
	s_nop 1
	v_cndmask_b32_e64 v7, v13, v11, s[2:3]
	v_cndmask_b32_e64 v11, 0, -1, vcc
	v_cmp_le_u32_e32 vcc, s16, v14
	s_nop 1
	v_cndmask_b32_e64 v13, 0, -1, vcc
	v_cmp_eq_u32_e32 vcc, s17, v1
	s_nop 1
	v_cndmask_b32_e32 v1, v11, v13, vcc
	v_cmp_ne_u32_e32 vcc, 0, v1
	v_cndmask_b32_e64 v1, v12, v10, s[2:3]
	s_nop 0
	v_cndmask_b32_e32 v5, v5, v7, vcc
	v_cndmask_b32_e32 v4, v4, v1, vcc
.LBB0_4:                                ;   in Loop: Header=BB0_2 Depth=1
	s_andn2_saveexec_b64 s[2:3], s[18:19]
	s_cbranch_execz .LBB0_6
; %bb.5:                                ;   in Loop: Header=BB0_2 Depth=1
	v_cvt_f32_u32_e32 v1, s16
	s_sub_i32 s18, 0, s16
	v_rcp_iflag_f32_e32 v1, v1
	s_nop 0
	v_mul_f32_e32 v1, 0x4f7ffffe, v1
	v_cvt_u32_f32_e32 v1, v1
	v_mul_lo_u32 v4, s18, v1
	v_mul_hi_u32 v4, v1, v4
	v_add_u32_e32 v1, v1, v4
	v_mul_hi_u32 v1, v8, v1
	v_mul_lo_u32 v4, v1, s16
	v_sub_u32_e32 v4, v8, v4
	v_add_u32_e32 v5, 1, v1
	v_subrev_u32_e32 v7, s16, v4
	v_cmp_le_u32_e32 vcc, s16, v4
	s_nop 1
	v_cndmask_b32_e32 v4, v4, v7, vcc
	v_cndmask_b32_e32 v1, v1, v5, vcc
	v_add_u32_e32 v5, 1, v1
	v_cmp_le_u32_e32 vcc, s16, v4
	s_nop 1
	v_cndmask_b32_e32 v4, v1, v5, vcc
	v_mov_b32_e32 v5, v6
.LBB0_6:                                ;   in Loop: Header=BB0_2 Depth=1
	s_or_b64 exec, exec, s[2:3]
	v_mad_u64_u32 v[10:11], s[2:3], v4, s16, 0
	s_load_dwordx2 s[2:3], s[6:7], 0x0
	v_mul_lo_u32 v1, v5, s16
	v_mul_lo_u32 v7, v4, s17
	s_load_dwordx2 s[16:17], s[4:5], 0x0
	v_add3_u32 v1, v11, v7, v1
	v_sub_co_u32_e32 v7, vcc, v8, v10
	s_add_u32 s10, s10, 1
	s_nop 0
	v_subb_co_u32_e32 v1, vcc, v9, v1, vcc
	s_waitcnt lgkmcnt(0)
	v_mul_lo_u32 v8, s2, v1
	v_mul_lo_u32 v9, s3, v7
	v_mad_u64_u32 v[74:75], s[2:3], s2, v7, v[74:75]
	v_add3_u32 v75, v9, v75, v8
	v_mul_lo_u32 v1, s16, v1
	v_mul_lo_u32 v8, s17, v7
	v_mad_u64_u32 v[2:3], s[2:3], s16, v7, v[2:3]
	s_load_dwordx4 s[16:19], s[0:1], 0x0
	s_addc_u32 s11, s11, 0
	s_add_u32 s4, s4, 8
	s_addc_u32 s5, s5, 0
	s_add_u32 s6, s6, 8
	v_add3_u32 v3, v8, v3, v1
	s_addc_u32 s7, s7, 0
	s_waitcnt lgkmcnt(0)
	v_mov_b64_e32 v[8:9], s[18:19]
	s_add_u32 s8, s8, 8
	v_cmp_ge_u64_e32 vcc, s[10:11], v[8:9]
	s_addc_u32 s9, s9, 0
	s_cbranch_vccnz .LBB0_9
; %bb.7:                                ;   in Loop: Header=BB0_2 Depth=1
	v_mov_b64_e32 v[8:9], v[4:5]
	s_branch .LBB0_2
.LBB0_8:
	v_mov_b64_e32 v[2:3], v[74:75]
	v_mov_b64_e32 v[4:5], v[8:9]
.LBB0_9:
	s_load_dwordx2 s[0:1], s[0:1], 0x28
	v_readlane_b32 s4, v198, 4
	v_readlane_b32 s6, v198, 6
	;; [unrolled: 1-line block ×3, first 2 shown]
	s_lshl_b64 s[2:3], s[6:7], 3
	v_readlane_b32 s5, v198, 5
	s_add_u32 s4, s14, s2
	s_waitcnt lgkmcnt(0)
	v_cmp_gt_u64_e64 s[6:7], s[0:1], v[4:5]
	s_addc_u32 s5, s15, s3
	v_cmp_le_u64_e32 vcc, s[0:1], v[4:5]
	v_writelane_b32 v198, s6, 8
                                        ; implicit-def: $vgpr126
	s_nop 1
	v_writelane_b32 v198, s7, 9
                                        ; implicit-def: $sgpr6
	s_and_saveexec_b64 s[0:1], vcc
	s_xor_b64 s[0:1], exec, s[0:1]
; %bb.10:
	s_mov_b32 s6, 0x5050506
	v_mul_hi_u32 v1, v0, s6
	v_mul_u32_u24_e32 v1, 51, v1
	v_sub_u32_e32 v126, v0, v1
	s_mov_b32 s6, 0
                                        ; implicit-def: $vgpr0
                                        ; implicit-def: $vgpr74_vgpr75
; %bb.11:
	s_or_saveexec_b64 s[0:1], s[0:1]
	s_load_dwordx2 s[4:5], s[4:5], 0x0
	v_mov_b32_e32 v1, s6
	v_mov_b32_e32 v69, s6
                                        ; implicit-def: $vgpr29
                                        ; implicit-def: $vgpr44
                                        ; implicit-def: $vgpr18
                                        ; implicit-def: $vgpr24
                                        ; implicit-def: $vgpr14
                                        ; implicit-def: $vgpr26
                                        ; implicit-def: $vgpr12
                                        ; implicit-def: $vgpr30
                                        ; implicit-def: $vgpr22
                                        ; implicit-def: $vgpr32
                                        ; implicit-def: $vgpr20
                                        ; implicit-def: $vgpr34
                                        ; implicit-def: $vgpr16
                                        ; implicit-def: $vgpr36
                                        ; implicit-def: $vgpr10
                                        ; implicit-def: $vgpr72
                                        ; implicit-def: $vgpr38
                                        ; implicit-def: $vgpr42
                                        ; implicit-def: $vgpr48
                                        ; implicit-def: $vgpr8
                                        ; implicit-def: $vgpr6
                                        ; implicit-def: $vgpr71
                                        ; implicit-def: $vgpr61
                                        ; implicit-def: $vgpr58
                                        ; implicit-def: $vgpr64
                                        ; implicit-def: $vgpr66
                                        ; implicit-def: $vgpr62
                                        ; implicit-def: $vgpr50
                                        ; implicit-def: $vgpr40
                                        ; implicit-def: $vgpr46
                                        ; implicit-def: $vgpr52
                                        ; implicit-def: $vgpr54
                                        ; implicit-def: $vgpr56
	s_waitcnt lgkmcnt(0)
	v_writelane_b32 v198, s4, 10
	s_nop 1
	v_writelane_b32 v198, s5, 11
	s_xor_b64 exec, exec, s[0:1]
	s_cbranch_execz .LBB0_15
; %bb.12:
	s_add_u32 s2, s12, s2
	s_addc_u32 s3, s13, s3
	s_load_dwordx2 s[2:3], s[2:3], 0x0
	s_mov_b32 s4, 0x5050506
	v_mov_b32_e32 v69, 0
                                        ; implicit-def: $vgpr9
                                        ; implicit-def: $vgpr11
                                        ; implicit-def: $vgpr37
                                        ; implicit-def: $vgpr17
                                        ; implicit-def: $vgpr35
                                        ; implicit-def: $vgpr21
                                        ; implicit-def: $vgpr33
                                        ; implicit-def: $vgpr23
                                        ; implicit-def: $vgpr31
                                        ; implicit-def: $vgpr13
                                        ; implicit-def: $vgpr27
                                        ; implicit-def: $vgpr15
                                        ; implicit-def: $vgpr25
                                        ; implicit-def: $vgpr19
                                        ; implicit-def: $vgpr28
	s_waitcnt lgkmcnt(0)
	v_mul_lo_u32 v1, s3, v4
	v_mul_lo_u32 v8, s2, v5
	v_mad_u64_u32 v[6:7], s[2:3], s2, v4, 0
	v_add3_u32 v7, v7, v8, v1
	v_mul_hi_u32 v1, v0, s4
	v_readlane_b32 s4, v198, 0
	v_mul_u32_u24_e32 v1, 51, v1
	v_readlane_b32 s5, v198, 1
	v_sub_u32_e32 v126, v0, v1
	v_lshlrev_b32_e32 v68, 3, v126
	v_lshl_add_u64 v[0:1], v[6:7], 3, s[4:5]
	v_lshl_add_u64 v[0:1], v[74:75], 3, v[0:1]
	;; [unrolled: 1-line block ×3, first 2 shown]
	s_movk_i32 s2, 0x1000
	v_add_co_u32_e32 v0, vcc, s2, v44
	global_load_dwordx2 v[70:71], v[44:45], off
	global_load_dwordx2 v[60:61], v[44:45], off offset:648
	global_load_dwordx2 v[58:59], v[44:45], off offset:1296
	;; [unrolled: 1-line block ×3, first 2 shown]
	v_addc_co_u32_e32 v1, vcc, 0, v45, vcc
	global_load_dwordx2 v[66:67], v[44:45], off offset:2592
	global_load_dwordx2 v[62:63], v[44:45], off offset:3240
	;; [unrolled: 1-line block ×8, first 2 shown]
	v_add_co_u32_e32 v6, vcc, 0x2000, v44
	s_movk_i32 s4, 0x2000
	s_nop 0
	v_addc_co_u32_e32 v7, vcc, 0, v45, vcc
	global_load_dwordx2 v[54:55], v[0:1], off offset:3680
	global_load_dwordx2 v[56:57], v[6:7], off offset:232
	;; [unrolled: 1-line block ×5, first 2 shown]
	v_cmp_gt_u32_e32 vcc, 30, v126
	v_mov_b32_e32 v1, v69
	v_readlane_b32 s6, v198, 2
	v_readlane_b32 s7, v198, 3
                                        ; implicit-def: $vgpr7
	s_and_saveexec_b64 s[2:3], vcc
	s_cbranch_execz .LBB0_14
; %bb.13:
	v_add_co_u32_e32 v68, vcc, 0x1000, v44
	global_load_dwordx2 v[0:1], v[44:45], off offset:408
	global_load_dwordx2 v[8:9], v[44:45], off offset:1056
	v_addc_co_u32_e32 v69, vcc, 0, v45, vcc
	global_load_dwordx2 v[18:19], v[68:69], off offset:1496
	global_load_dwordx2 v[28:29], v[68:69], off offset:2144
	;; [unrolled: 1-line block ×8, first 2 shown]
	v_add_co_u32_e32 v76, vcc, s4, v44
	s_nop 1
	v_addc_co_u32_e32 v77, vcc, 0, v45, vcc
	global_load_dwordx2 v[34:35], v[44:45], off offset:2352
	global_load_dwordx2 v[36:37], v[44:45], off offset:1704
	;; [unrolled: 1-line block ×7, first 2 shown]
	s_waitcnt vmcnt(16)
	v_mov_b32_e32 v69, v0
.LBB0_14:
	s_or_b64 exec, exec, s[2:3]
	s_waitcnt vmcnt(7)
	v_mov_b32_e32 v44, v73
	v_mov_b32_e32 v45, v71
	v_mov_b32_e32 v73, v70
	v_mov_b32_e32 v71, v60
	v_mov_b32_e32 v70, v74
	v_mov_b32_e32 v60, v75
.LBB0_15:
	s_or_b64 exec, exec, s[0:1]
	v_pk_add_f32 v[76:77], v[72:73], v[70:71]
	s_mov_b32 s80, 0xbf59a7d5
	v_mov_b32_e32 v0, v77
	v_pk_add_f32 v[76:77], v[0:1], v[58:59]
	s_mov_b32 s98, 0xbf1a4643
	v_pk_add_f32 v[76:77], v[76:77], v[64:65]
	s_mov_b32 s81, 0xbf06c442
	;; [unrolled: 2-line block ×4, first 2 shown]
	s_waitcnt vmcnt(0)
	v_mov_b32_e32 v77, v38
	v_pk_add_f32 v[76:77], v[76:77], v[70:71]
	s_mov_b32 s3, s80
	v_pk_add_f32 v[74:75], v[60:61], v[38:39] neg_lo:[0,1] neg_hi:[0,1]
	s_mov_b32 s30, s99
	s_mov_b32 s31, s81
	v_writelane_b32 v198, s2, 12
	s_mov_b32 s24, 0x3ee437d1
	s_mov_b32 s12, 0xbe8c1d8e
	v_pk_mul_f32 v[78:79], v[76:77], s[2:3] op_sel:[1,0]
	v_mov_b32_e32 v0, v73
	v_pk_fma_f32 v[80:81], v[74:75], s[30:31], v[78:79] op_sel:[1,0,0]
	s_mov_b32 s13, 0xbf763a35
	s_mov_b32 s4, 0x3f65296c
	;; [unrolled: 1-line block ×5, first 2 shown]
	v_writelane_b32 v198, s3, 13
	v_pk_add_f32 v[82:83], v[80:81], v[0:1] op_sel_hi:[1,0]
	v_pk_add_f32 v[80:81], v[42:43], v[58:59]
	s_mov_b32 s34, s23
	s_mov_b32 s35, s4
	v_pk_add_f32 v[102:103], v[58:59], v[42:43] neg_lo:[0,1] neg_hi:[0,1]
	v_writelane_b32 v198, s0, 14
	s_mov_b32 s57, 0x3f6eb680
	s_mov_b32 s96, 0x3dbcf732
	v_pk_mul_f32 v[98:99], v[80:81], s[0:1] op_sel_hi:[0,1]
	v_pk_fma_f32 v[84:85], v[102:103], s[34:35], v[98:99] op_sel:[1,0,0]
	s_mov_b32 s61, 0xbeb8f4ab
	v_pk_add_f32 v[86:87], v[82:83], v[84:85]
	s_mov_b32 s97, 0xbf7ee86f
	s_mov_b32 s42, s57
	;; [unrolled: 1-line block ×3, first 2 shown]
	v_pk_add_f32 v[82:83], v[48:49], v[64:65]
	s_mov_b32 s36, s61
	s_mov_b32 s37, s97
	v_pk_add_f32 v[84:85], v[64:65], v[48:49] neg_lo:[0,1] neg_hi:[0,1]
	v_pk_mul_f32 v[100:101], v[82:83], s[42:43] op_sel_hi:[0,1]
	v_pk_fma_f32 v[88:89], v[84:85], s[36:37], v[100:101] op_sel:[1,0,0]
	s_mov_b32 s52, 0x3f4c4adb
	v_pk_add_f32 v[90:91], v[86:87], v[88:89]
	s_mov_b32 s46, s80
	s_mov_b32 s47, s98
	v_pk_add_f32 v[86:87], v[66:67], v[56:57]
	s_mov_b32 s62, s81
	s_mov_b32 s63, s52
	v_pk_add_f32 v[88:89], v[66:67], v[56:57] neg_lo:[0,1] neg_hi:[0,1]
	v_pk_mul_f32 v[114:115], v[86:87], s[46:47] op_sel_hi:[0,1]
	v_pk_fma_f32 v[92:93], v[88:89], s[62:63], v[114:115] op_sel:[1,0,0]
	s_mov_b32 s59, 0x3f7ee86f
	v_pk_add_f32 v[94:95], v[92:93], v[90:91]
	s_mov_b32 s38, s96
	s_mov_b32 s39, s57
	v_pk_add_f32 v[90:91], v[62:63], v[54:55]
	s_mov_b32 s72, s59
	s_mov_b32 s73, s61
	v_pk_add_f32 v[92:93], v[62:63], v[54:55] neg_lo:[0,1] neg_hi:[0,1]
	v_pk_mul_f32 v[116:117], v[90:91], s[38:39] op_sel_hi:[0,1]
	v_pk_fma_f32 v[96:97], v[92:93], s[72:73], v[116:117] op_sel:[1,0,0]
	s_mov_b32 s6, 0xbf7ba420
	v_pk_add_f32 v[104:105], v[96:97], v[94:95]
	s_mov_b32 s94, 0x3f3d2fb0
	v_mov_b32_e32 v96, v70
	v_mov_b32_e32 v97, v60
	s_mov_b32 s7, 0xbe3c28d5
	s_mov_b32 s95, 0xbf2c7751
	v_pk_add_f32 v[94:95], v[96:97], v[52:53]
	s_mov_b32 s64, s94
	s_mov_b32 s65, s6
	v_pk_add_f32 v[96:97], v[96:97], v[52:53] neg_lo:[0,1] neg_hi:[0,1]
	s_mov_b32 s50, s95
	s_mov_b32 s51, s7
	v_pk_mul_f32 v[118:119], v[94:95], s[64:65] op_sel_hi:[0,1]
	v_pk_fma_f32 v[106:107], v[96:97], s[50:51], v[118:119] op_sel:[1,0,0]
	s_mov_b32 s84, 0x3f06c442
	v_pk_add_f32 v[106:107], v[106:107], v[104:105]
	s_mov_b32 s85, 0x3f2c7751
	s_mov_b32 s44, s6
	;; [unrolled: 1-line block ×3, first 2 shown]
	v_pk_add_f32 v[104:105], v[50:51], v[46:47]
	s_mov_b32 s48, s7
	s_mov_b32 s49, s85
	v_pk_add_f32 v[110:111], v[50:51], v[46:47] neg_lo:[0,1] neg_hi:[0,1]
	v_pk_mul_f32 v[120:121], v[104:105], s[44:45] op_sel_hi:[0,1]
	v_pk_fma_f32 v[108:109], v[110:111], s[48:49], v[120:121] op_sel:[1,0,0]
	s_mov_b32 s66, s24
	v_pk_add_f32 v[112:113], v[108:109], v[106:107]
	v_mov_b32_e32 v108, v72
	v_mov_b32_e32 v109, v44
	v_pk_add_f32 v[106:107], v[40:41], v[108:109]
	s_mov_b32 s67, s12
	v_pk_add_f32 v[108:109], v[40:41], v[108:109] neg_lo:[0,1] neg_hi:[0,1]
	s_mov_b32 s54, s4
	s_mov_b32 s55, s13
	v_pk_mul_f32 v[122:123], v[106:107], s[66:67] op_sel_hi:[0,1]
	v_pk_fma_f32 v[124:125], v[108:109], s[54:55], v[122:123] op_sel:[1,0,0]
	s_mov_b32 s76, s96
	s_mov_b32 s77, s12
	v_pk_add_f32 v[112:113], v[124:125], v[112:113]
	s_mov_b32 s68, s97
	s_mov_b32 s69, s13
	;; [unrolled: 1-line block ×4, first 2 shown]
	v_pk_mul_f32 v[124:125], v[76:77], s[76:77] op_sel:[1,0]
	v_writelane_b32 v198, s1, 15
	s_movk_i32 s0, 0x44
	s_mov_b32 s40, s7
	s_mov_b32 s41, s84
	v_pk_fma_f32 v[128:129], v[74:75], s[68:69], v[124:125] op_sel:[1,0,0]
	v_pk_mul_f32 v[130:131], v[80:81], s[78:79] op_sel_hi:[0,1]
	v_mad_u32_u24 v127, v126, s0, 0
	v_pk_add_f32 v[128:129], v[128:129], v[0:1] op_sel_hi:[1,0]
	v_pk_fma_f32 v[132:133], v[102:103], s[40:41], v[130:131] op_sel:[1,0,0]
	s_mov_b32 s0, s12
	s_mov_b32 s1, s94
	v_pk_add_f32 v[128:129], v[128:129], v[132:133]
	s_mov_b32 s70, s23
	s_mov_b32 s71, s85
	v_pk_mul_f32 v[132:133], v[82:83], s[0:1] op_sel_hi:[0,1]
	v_pk_fma_f32 v[134:135], v[84:85], s[70:71], v[132:133] op_sel:[1,0,0]
	s_mov_b32 s92, 0x3eb8f4ab
	s_mov_b32 s25, 0xbf65296c
	;; [unrolled: 1-line block ×4, first 2 shown]
	v_pk_add_f32 v[128:129], v[128:129], v[134:135]
	s_mov_b32 s86, s92
	s_mov_b32 s87, s25
	v_pk_mul_f32 v[134:135], v[86:87], s[82:83] op_sel_hi:[0,1]
	v_pk_fma_f32 v[136:137], v[88:89], s[86:87], v[134:135] op_sel:[1,0,0]
	s_mov_b32 s18, s24
	s_mov_b32 s19, s6
	v_pk_add_f32 v[128:129], v[136:137], v[128:129]
	s_mov_b32 s88, s25
	s_mov_b32 s89, s7
	v_pk_mul_f32 v[136:137], v[90:91], s[18:19] op_sel_hi:[0,1]
	s_mov_b32 s2, s80
	s_mov_b32 s3, s96
	v_pk_fma_f32 v[138:139], v[92:93], s[88:89], v[136:137] op_sel:[1,0,0]
	v_writelane_b32 v198, s2, 16
	v_pk_add_f32 v[128:129], v[138:139], v[128:129]
	s_mov_b32 s58, s81
	v_writelane_b32 v198, s3, 17
	v_pk_mul_f32 v[138:139], v[94:95], s[2:3] op_sel_hi:[0,1]
	s_mov_b32 s2, s98
	s_mov_b32 s3, s57
	v_pk_fma_f32 v[140:141], v[96:97], s[58:59], v[138:139] op_sel:[1,0,0]
	v_writelane_b32 v198, s2, 18
	v_pk_add_f32 v[128:129], v[140:141], v[128:129]
	s_mov_b32 s53, s61
	v_writelane_b32 v198, s3, 19
	v_pk_mul_f32 v[140:141], v[104:105], s[2:3] op_sel_hi:[0,1]
	s_mov_b32 s2, s94
	s_mov_b32 s3, s98
	v_pk_fma_f32 v[142:143], v[110:111], s[52:53], v[140:141] op_sel:[1,0,0]
	v_writelane_b32 v198, s2, 20
	v_pk_add_f32 v[128:129], v[142:143], v[128:129]
	s_mov_b32 s90, s85
	s_mov_b32 s91, s99
	v_writelane_b32 v198, s3, 21
	v_pk_mul_f32 v[142:143], v[106:107], s[2:3] op_sel_hi:[0,1]
	s_mov_b32 s2, s94
	s_mov_b32 s3, s24
	v_pk_fma_f32 v[144:145], v[108:109], s[90:91], v[142:143] op_sel:[1,0,0]
	s_mov_b32 s16, s95
	s_mov_b32 s17, s25
	;; [unrolled: 1-line block ×4, first 2 shown]
	v_writelane_b32 v198, s2, 22
	v_pk_add_f32 v[128:129], v[144:145], v[128:129]
	s_mov_b32 s26, s97
	v_pk_mul_f32 v[146:147], v[76:77], s[2:3] op_sel:[1,0]
	s_mov_b32 s27, s99
	v_pk_fma_f32 v[148:149], v[74:75], s[16:17], v[146:147] op_sel:[1,0,0]
	v_pk_mul_f32 v[150:151], v[80:81], s[28:29] op_sel_hi:[0,1]
	s_mov_b32 s14, s98
	s_mov_b32 s15, s6
	v_pk_fma_f32 v[152:153], v[102:103], s[26:27], v[150:151] op_sel:[1,0,0]
	s_mov_b32 s21, 0x3e3c28d5
	s_mov_b32 s20, s99
	v_pk_mul_f32 v[154:155], v[82:83], s[14:15] op_sel_hi:[0,1]
	s_mov_b32 s74, s6
	s_mov_b32 s75, s12
	ds_write2_b32 v127, v129, v128 offset0:12 offset1:13
	v_pk_add_f32 v[128:129], v[148:149], v[0:1] op_sel_hi:[1,0]
	v_pk_fma_f32 v[156:157], v[84:85], s[20:21], v[154:155] op_sel:[1,0,0]
	s_mov_b32 s22, s7
	v_pk_mul_f32 v[158:159], v[86:87], s[74:75] op_sel_hi:[0,1]
	s_mov_b32 s10, s80
	s_mov_b32 s11, s94
	v_pk_add_f32 v[128:129], v[128:129], v[152:153]
	v_pk_fma_f32 v[160:161], v[88:89], s[22:23], v[158:159] op_sel:[1,0,0]
	v_pk_mul_f32 v[162:163], v[90:91], s[10:11] op_sel_hi:[0,1]
	s_mov_b32 s56, s12
	v_pk_add_f32 v[128:129], v[128:129], v[156:157]
	v_writelane_b32 v198, s3, 23
	v_pk_fma_f32 v[164:165], v[92:93], s[84:85], v[162:163] op_sel:[1,0,0]
	s_mov_b32 s60, s23
	v_pk_mul_f32 v[166:167], v[94:95], s[56:57] op_sel_hi:[0,1]
	s_mov_b32 s2, s24
	s_mov_b32 s3, s96
	v_pk_add_f32 v[128:129], v[160:161], v[128:129]
	v_pk_fma_f32 v[168:169], v[96:97], s[60:61], v[166:167] op_sel:[1,0,0]
	s_mov_b32 s5, s97
	v_pk_mul_f32 v[170:171], v[104:105], s[2:3] op_sel_hi:[0,1]
	s_mov_b32 s8, s57
	s_mov_b32 s9, s80
	v_mov_b32_e32 v178, v80
	v_mov_b32_e32 v179, v103
	ds_write2_b32 v127, v113, v112 offset0:10 offset1:11
	v_mov_b32_e32 v112, v86
	v_mov_b32_e32 v113, v89
	v_pk_add_f32 v[128:129], v[164:165], v[128:129]
	v_pk_fma_f32 v[172:173], v[110:111], s[4:5], v[170:171] op_sel:[1,0,0]
	s_mov_b32 s93, s81
	v_pk_mul_f32 v[174:175], v[106:107], s[8:9] op_sel_hi:[0,1]
	v_pk_mul_f32 v[180:181], v[178:179], s[94:95]
	v_mov_b32_e32 v182, v82
	v_mov_b32_e32 v183, v85
	v_pk_mul_f32 v[144:145], v[112:113], s[96:97]
	v_pk_add_f32 v[128:129], v[168:169], v[128:129]
	v_pk_fma_f32 v[176:177], v[108:109], s[92:93], v[174:175] op_sel:[1,0,0]
	v_mov_b32_e32 v83, v180
	v_pk_mul_f32 v[184:185], v[182:183], s[24:25]
	v_mov_b32_e32 v81, v144
	v_pk_add_f32 v[128:129], v[172:173], v[128:129]
	v_mov_b32_e32 v168, v104
	v_mov_b32_e32 v169, v111
	;; [unrolled: 1-line block ×3, first 2 shown]
	v_pk_add_f32 v[128:129], v[176:177], v[128:129]
	v_pk_fma_f32 v[164:165], v[178:179], s[94:95], v[82:83] neg_lo:[1,0,0] neg_hi:[1,0,0]
	v_pk_mul_f32 v[176:177], v[168:169], s[80:81]
	v_pk_fma_f32 v[178:179], v[112:113], s[96:97], v[80:81] neg_lo:[1,0,0] neg_hi:[1,0,0]
	v_mov_b32_e32 v112, v106
	v_mov_b32_e32 v113, v109
	v_pk_fma_f32 v[172:173], v[182:183], s[24:25], v[86:87] neg_lo:[1,0,0] neg_hi:[1,0,0]
	v_mov_b32_e32 v81, v176
	v_pk_mul_f32 v[182:183], v[112:113], s[6:7]
	v_pk_fma_f32 v[168:169], v[168:169], s[80:81], v[80:81] neg_lo:[1,0,0] neg_hi:[1,0,0]
	v_mov_b32_e32 v81, v182
	v_pk_fma_f32 v[186:187], v[112:113], s[6:7], v[80:81] neg_lo:[1,0,0] neg_hi:[1,0,0]
	v_mov_b32_e32 v113, 0x3f6eb680
	v_mov_b32_e32 v112, v50
	v_mul_f32_e32 v189, 0xbeb8f4ab, v75
	v_mov_b32_e32 v188, v40
	v_pk_add_f32 v[190:191], v[76:77], v[50:51]
	v_pk_fma_f32 v[188:189], v[76:77], v[112:113], v[188:189] neg_lo:[0,0,1] neg_hi:[0,0,1]
	v_pk_add_f32 v[190:191], v[190:191], v[40:41]
	v_mov_b32_e32 v148, v90
	v_mov_b32_e32 v191, v189
	v_pk_mul_f32 v[188:189], v[76:77], v[112:113]
	v_mov_b32_e32 v149, v93
	v_fmac_f32_e32 v189, 0xbeb8f4ab, v75
	v_pk_mul_f32 v[152:153], v[148:149], s[12:13]
	v_mov_b32_e32 v156, v94
	v_mov_b32_e32 v157, v97
	v_add_f32_e32 v50, v189, v73
	v_pk_add_f32 v[72:73], v[190:191], v[72:73]
	v_mov_b32_e32 v164, v46
	v_mov_b32_e32 v91, v152
	v_pk_mul_f32 v[160:161], v[156:157], s[98:99]
	v_pk_add_f32 v[72:73], v[72:73], v[164:165]
	v_mov_b32_e32 v172, v52
	v_mov_b32_e32 v95, v160
	v_pk_fma_f32 v[148:149], v[148:149], s[12:13], v[90:91] neg_lo:[1,0,0] neg_hi:[1,0,0]
	v_pk_add_f32 v[72:73], v[72:73], v[172:173]
	v_mov_b32_e32 v178, v54
	v_pk_fma_f32 v[156:157], v[156:157], s[98:99], v[94:95] neg_lo:[1,0,0] neg_hi:[1,0,0]
	v_pk_add_f32 v[72:73], v[72:73], v[178:179]
	v_mov_b32_e32 v148, v56
	v_pk_add_f32 v[72:73], v[72:73], v[148:149]
	v_mov_b32_e32 v156, v48
	;; [unrolled: 2-line block ×4, first 2 shown]
	ds_write2_b32 v127, v129, v128 offset0:14 offset1:15
	v_pk_add_f32 v[72:73], v[186:187], v[72:73]
	v_pk_fma_f32 v[128:129], v[74:75], s[16:17], v[146:147] op_sel:[1,0,0] neg_lo:[1,0,0] neg_hi:[1,0,0]
	ds_write2_b32 v127, v72, v73 offset1:1
	v_pk_fma_f32 v[72:73], v[102:103], s[26:27], v[150:151] op_sel:[1,0,0] neg_lo:[1,0,0] neg_hi:[1,0,0]
	v_pk_add_f32 v[128:129], v[128:129], v[0:1] op_sel_hi:[1,0]
	v_pk_fma_f32 v[124:125], v[74:75], s[68:69], v[124:125] op_sel:[1,0,0] neg_lo:[1,0,0] neg_hi:[1,0,0]
	v_pk_add_f32 v[72:73], v[128:129], v[72:73]
	v_pk_fma_f32 v[128:129], v[84:85], s[20:21], v[154:155] op_sel:[1,0,0] neg_lo:[1,0,0] neg_hi:[1,0,0]
	v_writelane_b32 v198, s40, 24
	v_pk_add_f32 v[72:73], v[72:73], v[128:129]
	v_pk_fma_f32 v[128:129], v[88:89], s[22:23], v[158:159] op_sel:[1,0,0] neg_lo:[1,0,0] neg_hi:[1,0,0]
	v_pk_add_f32 v[124:125], v[124:125], v[0:1] op_sel_hi:[1,0]
	v_pk_add_f32 v[72:73], v[128:129], v[72:73]
	v_pk_fma_f32 v[128:129], v[92:93], s[84:85], v[162:163] op_sel:[1,0,0] neg_lo:[1,0,0] neg_hi:[1,0,0]
	v_writelane_b32 v198, s41, 25
	v_pk_add_f32 v[72:73], v[128:129], v[72:73]
	v_pk_fma_f32 v[128:129], v[96:97], s[60:61], v[166:167] op_sel:[1,0,0] neg_lo:[1,0,0] neg_hi:[1,0,0]
	v_writelane_b32 v198, s34, 26
	;; [unrolled: 3-line block ×4, first 2 shown]
	v_pk_add_f32 v[72:73], v[128:129], v[72:73]
	ds_write2_b32 v127, v72, v73 offset0:2 offset1:3
	v_pk_fma_f32 v[72:73], v[102:103], s[40:41], v[130:131] op_sel:[1,0,0] neg_lo:[1,0,0] neg_hi:[1,0,0]
	v_pk_fma_f32 v[78:79], v[74:75], s[30:31], v[78:79] op_sel:[1,0,0] neg_lo:[1,0,0] neg_hi:[1,0,0]
	v_pk_add_f32 v[72:73], v[124:125], v[72:73]
	v_pk_fma_f32 v[124:125], v[84:85], s[70:71], v[132:133] op_sel:[1,0,0] neg_lo:[1,0,0] neg_hi:[1,0,0]
	v_pk_add_f32 v[78:79], v[78:79], v[0:1] op_sel_hi:[1,0]
	v_pk_add_f32 v[72:73], v[72:73], v[124:125]
	v_pk_fma_f32 v[124:125], v[88:89], s[86:87], v[134:135] op_sel:[1,0,0] neg_lo:[1,0,0] neg_hi:[1,0,0]
	v_mul_f32_e32 v40, 0x3f6eb680, v80
	v_pk_add_f32 v[72:73], v[124:125], v[72:73]
	v_pk_fma_f32 v[124:125], v[92:93], s[88:89], v[136:137] op_sel:[1,0,0] neg_lo:[1,0,0] neg_hi:[1,0,0]
	v_mul_f32_e32 v42, 0x3eb8f4ab, v103
	v_pk_add_f32 v[72:73], v[124:125], v[72:73]
	v_pk_fma_f32 v[124:125], v[96:97], s[58:59], v[138:139] op_sel:[1,0,0] neg_lo:[1,0,0] neg_hi:[1,0,0]
	v_add_f32_e32 v46, v153, v152
	v_pk_add_f32 v[72:73], v[124:125], v[72:73]
	v_pk_fma_f32 v[124:125], v[110:111], s[52:53], v[140:141] op_sel:[1,0,0] neg_lo:[1,0,0] neg_hi:[1,0,0]
	v_add_f32_e32 v68, v161, v160
	v_pk_add_f32 v[72:73], v[124:125], v[72:73]
	v_pk_fma_f32 v[124:125], v[108:109], s[90:91], v[142:143] op_sel:[1,0,0] neg_lo:[1,0,0] neg_hi:[1,0,0]
	v_cmp_gt_u32_e32 vcc, 30, v126
	v_pk_add_f32 v[72:73], v[124:125], v[72:73]
	ds_write2_b32 v127, v72, v73 offset0:4 offset1:5
	v_pk_fma_f32 v[72:73], v[102:103], s[34:35], v[98:99] op_sel:[1,0,0] neg_lo:[1,0,0] neg_hi:[1,0,0]
	v_pk_add_f32 v[98:99], v[34:35], v[16:17] neg_lo:[0,1] neg_hi:[0,1]
	v_pk_add_f32 v[72:73], v[78:79], v[72:73]
	v_pk_fma_f32 v[78:79], v[84:85], s[36:37], v[100:101] op_sel:[1,0,0] neg_lo:[1,0,0] neg_hi:[1,0,0]
	v_pk_add_f32 v[100:101], v[32:33], v[20:21] neg_lo:[0,1] neg_hi:[0,1]
	v_pk_add_f32 v[72:73], v[72:73], v[78:79]
	v_pk_fma_f32 v[78:79], v[88:89], s[62:63], v[114:115] op_sel:[1,0,0] neg_lo:[1,0,0] neg_hi:[1,0,0]
	v_writelane_b32 v198, s31, 29
	v_pk_add_f32 v[72:73], v[78:79], v[72:73]
	v_pk_fma_f32 v[78:79], v[92:93], s[72:73], v[116:117] op_sel:[1,0,0] neg_lo:[1,0,0] neg_hi:[1,0,0]
	s_nop 0
	v_pk_add_f32 v[72:73], v[78:79], v[72:73]
	v_pk_fma_f32 v[78:79], v[96:97], s[50:51], v[118:119] op_sel:[1,0,0] neg_lo:[1,0,0] neg_hi:[1,0,0]
	s_nop 0
	;; [unrolled: 3-line block ×4, first 2 shown]
	v_pk_add_f32 v[72:73], v[78:79], v[72:73]
	ds_write2_b32 v127, v72, v73 offset0:6 offset1:7
	v_pk_add_f32 v[72:73], v[40:41], v[42:43] neg_lo:[0,1] neg_hi:[0,1]
	v_pk_add_f32 v[78:79], v[40:41], v[42:43]
	v_mul_f32_e32 v40, 0xbf59a7d5, v82
	v_mul_f32_e32 v42, 0xbf06c442, v85
	v_mov_b32_e32 v73, v78
	v_pk_add_f32 v[78:79], v[40:41], v[42:43] neg_lo:[0,1] neg_hi:[0,1]
	v_pk_add_f32 v[80:81], v[40:41], v[42:43]
	v_mul_f32_e32 v40, 0x3f3d2fb0, v86
	v_mul_f32_e32 v42, 0x3f2c7751, v89
	v_mov_b32_e32 v79, v80
	;; [unrolled: 5-line block ×6, first 2 shown]
	v_pk_add_f32 v[88:89], v[40:41], v[42:43] neg_lo:[0,1] neg_hi:[0,1]
	v_pk_add_f32 v[90:91], v[40:41], v[42:43]
	v_mul_f32_e32 v40, 0xbe3c28d5, v75
	v_mul_f32_e32 v42, 0xbf7ba420, v77
	v_pk_add_f32 v[74:75], v[42:43], v[40:41] neg_lo:[0,1] neg_hi:[0,1]
	v_pk_add_f32 v[76:77], v[42:43], v[40:41]
	v_add_f32_e32 v40, v185, v184
	v_mov_b32_e32 v75, v76
	v_pk_add_f32 v[74:75], v[74:75], v[0:1] op_sel_hi:[1,0]
	v_add_f32_e32 v0, v181, v180
	v_pk_add_f32 v[72:73], v[74:75], v[72:73]
	v_add_f32_e32 v0, v50, v0
	v_pk_add_f32 v[72:73], v[72:73], v[78:79]
	;; [unrolled: 2-line block ×5, first 2 shown]
	v_add_f32_e32 v0, v46, v0
	v_mov_b32_e32 v89, v90
	v_pk_add_f32 v[72:73], v[86:87], v[72:73]
	v_add_f32_e32 v76, v177, v176
	v_add_f32_e32 v0, v68, v0
	v_pk_add_f32 v[72:73], v[88:89], v[72:73]
	v_add_f32_e32 v77, v183, v182
	v_add_f32_e32 v0, v76, v0
	ds_write2_b32 v127, v72, v73 offset0:8 offset1:9
	v_pk_add_f32 v[94:95], v[8:9], v[6:7] neg_lo:[0,1] neg_hi:[0,1]
	v_pk_add_f32 v[72:73], v[36:37], v[10:11]
	v_pk_add_f32 v[96:97], v[36:37], v[10:11] neg_lo:[0,1] neg_hi:[0,1]
	v_pk_add_f32 v[74:75], v[34:35], v[16:17]
	v_pk_add_f32 v[82:83], v[32:33], v[20:21]
	v_add_f32_e32 v0, v77, v0
	v_pk_add_f32 v[84:85], v[30:31], v[22:23]
	v_pk_add_f32 v[92:93], v[30:31], v[22:23] neg_lo:[0,1] neg_hi:[0,1]
	v_pk_add_f32 v[86:87], v[26:27], v[12:13]
	v_pk_add_f32 v[90:91], v[26:27], v[12:13] neg_lo:[0,1] neg_hi:[0,1]
	;; [unrolled: 2-line block ×4, first 2 shown]
	ds_write_b32 v127, v0 offset:64
	s_and_saveexec_b64 s[30:31], vcc
	s_cbranch_execz .LBB0_17
; %bb.16:
	v_mov_b32_e32 v114, v72
	v_mov_b32_e32 v115, v97
	;; [unrolled: 1-line block ×4, first 2 shown]
	v_pk_mul_f32 v[144:145], v[114:115], s[94:95]
	v_mul_f32_e32 v120, 0x3f2c7751, v101
	v_pk_mul_f32 v[146:147], v[116:117], s[24:25]
	v_mov_b32_e32 v121, v144
	v_mov_b32_e32 v112, v69
	v_add_f32_e32 v129, v147, v146
	v_pk_fma_f32 v[114:115], v[114:115], s[94:95], v[120:121] neg_lo:[1,0,0] neg_hi:[1,0,0]
	v_mov_b32_e32 v121, v146
	v_pk_add_f32 v[146:147], v[112:113], v[8:9]
	v_mov_b32_e32 v118, v82
	v_pk_add_f32 v[146:147], v[146:147], v[36:37]
	;; [unrolled: 2-line block ×3, first 2 shown]
	v_pk_mul_f32 v[148:149], v[118:119], s[96:97]
	v_pk_add_f32 v[146:147], v[146:147], v[32:33]
	v_add_f32_e32 v133, v149, v148
	v_pk_add_f32 v[146:147], v[146:147], v[30:31]
	v_pk_fma_f32 v[116:117], v[116:117], s[24:25], v[120:121] neg_lo:[1,0,0] neg_hi:[1,0,0]
	v_mov_b32_e32 v121, v148
	v_mov_b32_e32 v147, v8
	;; [unrolled: 1-line block ×4, first 2 shown]
	v_pk_add_f32 v[146:147], v[146:147], v[148:149]
	v_mov_b32_e32 v112, v24
	v_pk_add_f32 v[148:149], v[146:147], v[24:25]
	v_mul_f32_e32 v24, 0x3f6eb680, v147
	v_fmac_f32_e32 v24, 0xbeb8f4ab, v95
	v_add_f32_e32 v125, v145, v144
	v_add_f32_e32 v24, v69, v24
	v_mov_b32_e32 v122, v84
	v_mov_b32_e32 v123, v93
	v_add_f32_e32 v24, v24, v125
	v_mov_b32_e32 v130, v86
	v_mov_b32_e32 v131, v91
	v_pk_mul_f32 v[150:151], v[122:123], s[12:13]
	v_add_f32_e32 v24, v24, v129
	v_mov_b32_e32 v136, v80
	v_mov_b32_e32 v137, v89
	v_add_f32_e32 v135, v151, v150
	v_pk_mul_f32 v[152:153], v[130:131], s[98:99]
	v_add_f32_e32 v24, v24, v133
	v_add_f32_e32 v139, v153, v152
	v_pk_mul_f32 v[154:155], v[136:137], s[80:81]
	v_mov_b32_e32 v156, v76
	v_mov_b32_e32 v157, v79
	v_add_f32_e32 v24, v24, v135
	v_add_f32_e32 v141, v155, v154
	v_pk_mul_f32 v[162:163], v[156:157], s[6:7]
	v_add_f32_e32 v24, v24, v139
	v_add_f32_e32 v142, v163, v162
	;; [unrolled: 1-line block ×3, first 2 shown]
	v_mul_f32_e32 v143, 0xbeb8f4ab, v95
	v_add_f32_e32 v24, v24, v142
	v_mov_b32_e32 v142, v18
	v_pk_add_f32 v[148:149], v[148:149], v[18:19]
	v_pk_fma_f32 v[142:143], v[146:147], v[112:113], v[142:143] neg_lo:[0,0,1] neg_hi:[0,0,1]
	v_mov_b32_e32 v68, v28
	v_mov_b32_e32 v149, v143
	v_pk_add_f32 v[142:143], v[148:149], v[68:69]
	v_mov_b32_e32 v114, v14
	v_pk_fma_f32 v[118:119], v[118:119], s[96:97], v[120:121] neg_lo:[1,0,0] neg_hi:[1,0,0]
	v_mov_b32_e32 v121, v150
	v_pk_add_f32 v[114:115], v[114:115], v[142:143]
	v_mov_b32_e32 v116, v12
	v_pk_fma_f32 v[122:123], v[122:123], s[12:13], v[120:121] neg_lo:[1,0,0] neg_hi:[1,0,0]
	;; [unrolled: 4-line block ×3, first 2 shown]
	v_mov_b32_e32 v121, v154
	v_pk_add_f32 v[114:115], v[118:119], v[114:115]
	v_mov_b32_e32 v122, v20
	s_mov_b32 s12, 0x3f06c442
	v_pk_fma_f32 v[136:137], v[136:137], s[80:81], v[120:121] neg_lo:[1,0,0] neg_hi:[1,0,0]
	v_mov_b32_e32 v121, v162
	v_pk_add_f32 v[114:115], v[122:123], v[114:115]
	v_mov_b32_e32 v130, v16
	v_pk_mul_f32 v[122:123], v[84:85], s[10:11] op_sel_hi:[0,1]
	s_mov_b32 s13, 0x3f2c7751
	v_pk_fma_f32 v[144:145], v[156:157], s[6:7], v[120:121] neg_lo:[1,0,0] neg_hi:[1,0,0]
	v_pk_add_f32 v[114:115], v[130:131], v[114:115]
	v_mov_b32_e32 v136, v10
	v_pk_fma_f32 v[152:153], v[92:93], s[12:13], v[122:123] op_sel:[1,0,0] neg_lo:[1,0,0] neg_hi:[1,0,0]
	v_readlane_b32 s12, v198, 22
	v_pk_add_f32 v[114:115], v[136:137], v[114:115]
	v_mov_b32_e32 v144, v6
	v_readlane_b32 s13, v198, 23
	v_add_u32_e32 v121, 0xd8c, v127
	v_pk_add_f32 v[114:115], v[144:145], v[114:115]
	v_pk_mul_f32 v[164:165], v[146:147], s[12:13] op_sel:[1,0]
	ds_write2_b32 v121, v114, v115 offset1:1
	v_pk_mul_f32 v[114:115], v[72:73], s[28:29] op_sel_hi:[0,1]
	v_pk_fma_f32 v[166:167], v[94:95], s[16:17], v[164:165] op_sel:[1,0,0] neg_lo:[1,0,0] neg_hi:[1,0,0]
	v_pk_mul_f32 v[116:117], v[74:75], s[14:15] op_sel_hi:[0,1]
	v_pk_fma_f32 v[144:145], v[96:97], s[26:27], v[114:115] op_sel:[1,0,0] neg_lo:[1,0,0] neg_hi:[1,0,0]
	v_pk_add_f32 v[166:167], v[68:69], v[166:167] op_sel:[1,0]
	v_pk_mul_f32 v[118:119], v[82:83], s[74:75] op_sel_hi:[0,1]
	v_pk_fma_f32 v[148:149], v[98:99], s[20:21], v[116:117] op_sel:[1,0,0] neg_lo:[1,0,0] neg_hi:[1,0,0]
	v_pk_add_f32 v[144:145], v[166:167], v[144:145]
	v_pk_fma_f32 v[150:151], v[100:101], s[22:23], v[118:119] op_sel:[1,0,0] neg_lo:[1,0,0] neg_hi:[1,0,0]
	v_pk_add_f32 v[144:145], v[144:145], v[148:149]
	v_pk_mul_f32 v[130:131], v[86:87], s[56:57] op_sel_hi:[0,1]
	v_pk_add_f32 v[144:145], v[144:145], v[150:151]
	v_pk_mul_f32 v[136:137], v[80:81], s[2:3] op_sel_hi:[0,1]
	v_pk_fma_f32 v[154:155], v[90:91], s[60:61], v[130:131] op_sel:[1,0,0] neg_lo:[1,0,0] neg_hi:[1,0,0]
	v_pk_add_f32 v[144:145], v[144:145], v[152:153]
	v_pk_mul_f32 v[142:143], v[76:77], s[8:9] op_sel_hi:[0,1]
	v_pk_fma_f32 v[156:157], v[88:89], s[4:5], v[136:137] op_sel:[1,0,0] neg_lo:[1,0,0] neg_hi:[1,0,0]
	v_pk_add_f32 v[144:145], v[144:145], v[154:155]
	v_pk_fma_f32 v[162:163], v[78:79], s[92:93], v[142:143] op_sel:[1,0,0] neg_lo:[1,0,0] neg_hi:[1,0,0]
	v_pk_add_f32 v[144:145], v[144:145], v[156:157]
	v_add_u32_e32 v6, 0xd94, v127
	v_pk_add_f32 v[144:145], v[144:145], v[162:163]
	v_pk_mul_f32 v[152:153], v[84:85], s[18:19] op_sel_hi:[0,1]
	s_mov_b64 s[84:85], s[18:19]
	s_mov_b64 s[18:19], s[68:69]
	v_readlane_b32 s68, v198, 24
	v_pk_mul_f32 v[180:181], v[146:147], s[76:77] op_sel:[1,0]
	ds_write2_b32 v6, v144, v145 offset1:1
	v_pk_mul_f32 v[144:145], v[72:73], s[78:79] op_sel_hi:[0,1]
	v_readlane_b32 s12, v198, 16
	v_readlane_b32 s69, v198, 25
	v_pk_fma_f32 v[182:183], v[94:95], s[18:19], v[180:181] op_sel:[1,0,0] neg_lo:[1,0,0] neg_hi:[1,0,0]
	v_pk_mul_f32 v[148:149], v[74:75], s[0:1] op_sel_hi:[0,1]
	v_readlane_b32 s13, v198, 17
	v_pk_fma_f32 v[166:167], v[96:97], s[68:69], v[144:145] op_sel:[1,0,0] neg_lo:[1,0,0] neg_hi:[1,0,0]
	v_pk_add_f32 v[182:183], v[68:69], v[182:183] op_sel:[1,0]
	v_pk_mul_f32 v[150:151], v[82:83], s[82:83] op_sel_hi:[0,1]
	v_pk_mul_f32 v[154:155], v[86:87], s[12:13] op_sel_hi:[0,1]
	v_readlane_b32 s12, v198, 18
	v_pk_fma_f32 v[168:169], v[98:99], s[70:71], v[148:149] op_sel:[1,0,0] neg_lo:[1,0,0] neg_hi:[1,0,0]
	v_pk_add_f32 v[166:167], v[182:183], v[166:167]
	v_readlane_b32 s13, v198, 19
	v_pk_fma_f32 v[170:171], v[100:101], s[86:87], v[150:151] op_sel:[1,0,0] neg_lo:[1,0,0] neg_hi:[1,0,0]
	v_pk_add_f32 v[166:167], v[166:167], v[168:169]
	v_pk_mul_f32 v[156:157], v[80:81], s[12:13] op_sel_hi:[0,1]
	v_readlane_b32 s12, v198, 20
	v_pk_fma_f32 v[172:173], v[92:93], s[88:89], v[152:153] op_sel:[1,0,0] neg_lo:[1,0,0] neg_hi:[1,0,0]
	v_pk_add_f32 v[166:167], v[166:167], v[170:171]
	v_readlane_b32 s13, v198, 21
	v_pk_fma_f32 v[174:175], v[90:91], s[58:59], v[154:155] op_sel:[1,0,0] neg_lo:[1,0,0] neg_hi:[1,0,0]
	v_pk_add_f32 v[166:167], v[166:167], v[172:173]
	v_pk_mul_f32 v[162:163], v[76:77], s[12:13] op_sel_hi:[0,1]
	v_pk_fma_f32 v[176:177], v[88:89], s[52:53], v[156:157] op_sel:[1,0,0] neg_lo:[1,0,0] neg_hi:[1,0,0]
	v_pk_add_f32 v[166:167], v[166:167], v[174:175]
	v_pk_fma_f32 v[178:179], v[78:79], s[90:91], v[162:163] op_sel:[1,0,0] neg_lo:[1,0,0] neg_hi:[1,0,0]
	v_pk_add_f32 v[166:167], v[166:167], v[176:177]
	v_readlane_b32 s34, v198, 14
	v_add_u32_e32 v6, 0xd9c, v127
	v_pk_add_f32 v[166:167], v[166:167], v[178:179]
	v_readlane_b32 s35, v198, 15
	ds_write2_b32 v6, v166, v167 offset1:1
	v_mul_f32_e32 v26, 0xbf7ba420, v147
	v_pk_mul_f32 v[166:167], v[72:73], s[34:35] op_sel_hi:[0,1]
	v_readlane_b32 s34, v198, 12
	v_readlane_b32 s35, v198, 13
	;; [unrolled: 1-line block ×4, first 2 shown]
	v_pk_mul_f32 v[146:147], v[146:147], s[34:35] op_sel:[1,0]
	v_readlane_b32 s34, v198, 28
	v_readlane_b32 s35, v198, 29
	v_pk_mul_f32 v[168:169], v[74:75], s[42:43] op_sel_hi:[0,1]
	v_pk_fma_f32 v[182:183], v[96:97], s[40:41], v[166:167] op_sel:[1,0,0] neg_lo:[1,0,0] neg_hi:[1,0,0]
	v_pk_fma_f32 v[196:197], v[94:95], s[34:35], v[146:147] op_sel:[1,0,0] neg_lo:[1,0,0] neg_hi:[1,0,0]
	v_pk_mul_f32 v[170:171], v[82:83], s[46:47] op_sel_hi:[0,1]
	v_pk_add_f32 v[196:197], v[68:69], v[196:197] op_sel:[1,0]
	v_pk_fma_f32 v[184:185], v[98:99], s[36:37], v[168:169] op_sel:[1,0,0] neg_lo:[1,0,0] neg_hi:[1,0,0]
	v_pk_add_f32 v[182:183], v[196:197], v[182:183]
	v_pk_mul_f32 v[172:173], v[84:85], s[38:39] op_sel_hi:[0,1]
	v_pk_fma_f32 v[186:187], v[100:101], s[62:63], v[170:171] op_sel:[1,0,0] neg_lo:[1,0,0] neg_hi:[1,0,0]
	v_pk_add_f32 v[182:183], v[182:183], v[184:185]
	v_pk_mul_f32 v[174:175], v[86:87], s[64:65] op_sel_hi:[0,1]
	v_pk_fma_f32 v[188:189], v[92:93], s[72:73], v[172:173] op_sel:[1,0,0] neg_lo:[1,0,0] neg_hi:[1,0,0]
	v_pk_add_f32 v[182:183], v[182:183], v[186:187]
	v_pk_mul_f32 v[176:177], v[80:81], s[44:45] op_sel_hi:[0,1]
	v_pk_fma_f32 v[190:191], v[90:91], s[50:51], v[174:175] op_sel:[1,0,0] neg_lo:[1,0,0] neg_hi:[1,0,0]
	v_pk_add_f32 v[182:183], v[182:183], v[188:189]
	v_pk_mul_f32 v[178:179], v[76:77], s[66:67] op_sel_hi:[0,1]
	v_pk_fma_f32 v[192:193], v[88:89], s[48:49], v[176:177] op_sel:[1,0,0] neg_lo:[1,0,0] neg_hi:[1,0,0]
	v_pk_add_f32 v[182:183], v[182:183], v[190:191]
	v_pk_fma_f32 v[194:195], v[78:79], s[54:55], v[178:179] op_sel:[1,0,0] neg_lo:[1,0,0] neg_hi:[1,0,0]
	v_pk_add_f32 v[182:183], v[182:183], v[192:193]
	v_mul_f32_e32 v28, 0x3f6eb680, v72
	v_mul_f32_e32 v40, 0x3eb8f4ab, v97
	v_add_u32_e32 v6, 0xda4, v127
	v_pk_add_f32 v[182:183], v[182:183], v[194:195]
	v_mul_f32_e32 v42, 0xbf59a7d5, v74
	v_mul_f32_e32 v46, 0xbf06c442, v99
	ds_write2_b32 v6, v182, v183 offset1:1
	v_pk_add_f32 v[182:183], v[28:29], v[40:41] neg_lo:[0,1] neg_hi:[0,1]
	v_pk_add_f32 v[184:185], v[28:29], v[40:41]
	v_mul_f32_e32 v50, 0x3f3d2fb0, v82
	v_mov_b32_e32 v183, v184
	v_pk_add_f32 v[184:185], v[42:43], v[46:47] neg_lo:[0,1] neg_hi:[0,1]
	v_pk_add_f32 v[186:187], v[42:43], v[46:47]
	v_mul_f32_e32 v124, 0xbf1a4643, v84
	v_mul_f32_e32 v128, 0xbf4c4adb, v93
	v_mov_b32_e32 v185, v186
	v_pk_add_f32 v[186:187], v[50:51], v[120:121] neg_lo:[0,1] neg_hi:[0,1]
	v_pk_add_f32 v[120:121], v[50:51], v[120:121]
	v_mul_f32_e32 v132, 0x3ee437d1, v86
	;; [unrolled: 5-line block ×5, first 2 shown]
	v_mov_b32_e32 v129, v132
	v_pk_add_f32 v[132:133], v[158:159], v[160:161] neg_lo:[0,1] neg_hi:[0,1]
	v_pk_add_f32 v[134:135], v[158:159], v[160:161]
	v_pk_add_f32 v[138:139], v[26:27], v[0:1]
	v_mov_b32_e32 v133, v134
	v_pk_add_f32 v[134:135], v[26:27], v[0:1] neg_lo:[0,1] neg_hi:[0,1]
	v_add_u32_e32 v6, 0xdac, v127
	v_mov_b32_e32 v135, v138
	v_pk_add_f32 v[134:135], v[68:69], v[134:135] op_sel:[1,0]
	v_pk_fma_f32 v[146:147], v[94:95], s[34:35], v[146:147] op_sel:[1,0,0]
	v_pk_add_f32 v[134:135], v[134:135], v[182:183]
	v_pk_add_f32 v[146:147], v[68:69], v[146:147] op_sel:[1,0]
	v_pk_add_f32 v[134:135], v[134:135], v[184:185]
	v_pk_fma_f32 v[138:139], v[88:89], s[48:49], v[176:177] op_sel:[1,0,0]
	v_pk_add_f32 v[134:135], v[134:135], v[186:187]
	v_pk_fma_f32 v[140:141], v[78:79], s[54:55], v[178:179] op_sel:[1,0,0]
	;; [unrolled: 2-line block ×5, first 2 shown]
	v_pk_add_f32 v[120:121], v[120:121], v[132:133]
	ds_write2_b32 v6, v120, v121 offset1:1
	v_pk_fma_f32 v[120:121], v[96:97], s[40:41], v[166:167] op_sel:[1,0,0]
	v_pk_fma_f32 v[132:133], v[92:93], s[72:73], v[172:173] op_sel:[1,0,0]
	v_pk_add_f32 v[120:121], v[146:147], v[120:121]
	v_add_u32_e32 v6, 0xdb4, v127
	v_pk_add_f32 v[120:121], v[120:121], v[124:125]
	v_pk_fma_f32 v[124:125], v[98:99], s[70:71], v[148:149] op_sel:[1,0,0]
	v_pk_add_f32 v[120:121], v[120:121], v[128:129]
	v_pk_fma_f32 v[128:129], v[100:101], s[86:87], v[150:151] op_sel:[1,0,0]
	v_pk_add_f32 v[120:121], v[120:121], v[132:133]
	v_pk_fma_f32 v[132:133], v[92:93], s[88:89], v[152:153] op_sel:[1,0,0]
	v_pk_add_f32 v[120:121], v[120:121], v[134:135]
	v_pk_fma_f32 v[134:135], v[90:91], s[58:59], v[154:155] op_sel:[1,0,0]
	v_pk_add_f32 v[120:121], v[120:121], v[138:139]
	v_pk_fma_f32 v[138:139], v[88:89], s[52:53], v[156:157] op_sel:[1,0,0]
	v_pk_add_f32 v[120:121], v[120:121], v[140:141]
	ds_write2_b32 v6, v121, v120 offset1:1
	v_pk_fma_f32 v[120:121], v[96:97], s[68:69], v[144:145] op_sel:[1,0,0]
	s_mov_b64 s[68:69], s[18:19]
	v_pk_fma_f32 v[144:145], v[94:95], s[68:69], v[180:181] op_sel:[1,0,0]
	v_pk_fma_f32 v[140:141], v[78:79], s[90:91], v[162:163] op_sel:[1,0,0]
	v_pk_add_f32 v[144:145], v[68:69], v[144:145] op_sel:[1,0]
	s_mov_b32 s34, 0x3f06c442
	v_pk_add_f32 v[120:121], v[144:145], v[120:121]
	v_add_u32_e32 v6, 0xdbc, v127
	v_pk_add_f32 v[120:121], v[120:121], v[124:125]
	s_mov_b32 s35, 0x3f2c7751
	v_pk_add_f32 v[120:121], v[120:121], v[128:129]
	v_pk_fma_f32 v[114:115], v[96:97], s[26:27], v[114:115] op_sel:[1,0,0]
	v_pk_add_f32 v[120:121], v[120:121], v[132:133]
	v_pk_fma_f32 v[116:117], v[98:99], s[20:21], v[116:117] op_sel:[1,0,0]
	;; [unrolled: 2-line block ×3, first 2 shown]
	v_pk_add_f32 v[120:121], v[120:121], v[138:139]
	s_mov_b64 s[12:13], s[66:67]
	v_pk_add_f32 v[120:121], v[120:121], v[140:141]
	ds_write2_b32 v6, v121, v120 offset1:1
	v_pk_fma_f32 v[120:121], v[92:93], s[34:35], v[122:123] op_sel:[1,0,0]
	v_pk_fma_f32 v[122:123], v[90:91], s[60:61], v[130:131] op_sel:[1,0,0]
	;; [unrolled: 1-line block ×3, first 2 shown]
	s_mov_b64 s[66:67], s[44:45]
	v_pk_add_f32 v[68:69], v[68:69], v[130:131] op_sel:[1,0]
	s_mov_b64 s[44:45], s[64:65]
	v_pk_add_f32 v[68:69], v[68:69], v[114:115]
	s_mov_b64 s[64:65], s[38:39]
	v_pk_add_f32 v[68:69], v[68:69], v[116:117]
	v_pk_fma_f32 v[124:125], v[88:89], s[4:5], v[136:137] op_sel:[1,0,0]
	v_pk_add_f32 v[68:69], v[68:69], v[118:119]
	s_mov_b64 s[38:39], s[64:65]
	v_pk_add_f32 v[68:69], v[68:69], v[120:121]
	s_mov_b64 s[64:65], s[44:45]
	;; [unrolled: 2-line block ×3, first 2 shown]
	s_mov_b64 s[66:67], s[12:13]
	s_mov_b32 s12, 0xbe8c1d8e
	v_pk_fma_f32 v[128:129], v[78:79], s[92:93], v[142:143] op_sel:[1,0,0]
	v_pk_add_f32 v[68:69], v[68:69], v[124:125]
	s_mov_b32 s13, 0xbf763a35
	s_mov_b64 s[18:19], s[84:85]
	v_add_u32_e32 v6, 0xdc4, v127
	v_pk_add_f32 v[68:69], v[68:69], v[128:129]
	ds_write2_b32 v6, v69, v68 offset1:1
	ds_write_b32 v127, v24 offset:3532
	v_mov_b32_e32 v0, v69
.LBB0_17:
	s_or_b64 exec, exec, s[30:31]
	v_pk_add_f32 v[68:69], v[44:45], v[60:61]
	v_mov_b32_e32 v114, v56
	v_pk_add_f32 v[68:69], v[68:69], v[58:59]
	v_mov_b32_e32 v115, v48
	v_pk_add_f32 v[68:69], v[68:69], v[64:65]
	s_mov_b32 s34, 0x3f06c442
	v_pk_add_f32 v[116:117], v[68:69], v[66:67]
	v_mov_b32_e32 v68, v67
	v_mov_b32_e32 v67, v64
	;; [unrolled: 1-line block ×4, first 2 shown]
	v_pk_add_f32 v[66:67], v[66:67], v[114:115] neg_lo:[0,1] neg_hi:[0,1]
	v_pk_add_f32 v[64:65], v[68:69], v[64:65]
	s_mov_b32 s35, 0x3f2c7751
	v_mov_b32_e32 v68, v64
	v_mov_b32_e32 v69, v66
	s_mov_b32 s30, s35
	s_mov_b32 s31, s81
	v_pk_mul_f32 v[128:129], v[68:69], s[96:97]
	v_pk_mul_f32 v[114:115], v[66:67], s[30:31]
	v_mov_b32_e32 v119, v128
	s_mov_b32 s30, s94
	s_mov_b32 s31, s80
	v_pk_fma_f32 v[118:119], v[68:69], s[96:97], v[118:119]
	v_pk_fma_f32 v[120:121], v[64:65], s[30:31], v[114:115]
	v_pk_fma_f32 v[122:123], v[64:65], s[30:31], v[114:115] neg_lo:[0,0,1] neg_hi:[0,0,1]
	v_mov_b32_e32 v68, v70
	v_mov_b32_e32 v69, v62
	;; [unrolled: 1-line block ×4, first 2 shown]
	v_pk_add_f32 v[114:115], v[68:69], v[114:115] neg_lo:[0,1] neg_hi:[0,1]
	v_mov_b32_e32 v68, v65
	v_mov_b32_e32 v69, v67
	v_pk_mul_f32 v[132:133], v[68:69], s[24:25]
	v_mov_b32_e32 v134, v53
	v_mov_b32_e32 v125, v132
	v_pk_fma_f32 v[124:125], v[68:69], s[24:25], v[124:125]
	v_mov_b32_e32 v68, v60
	v_mov_b32_e32 v69, v63
	;; [unrolled: 1-line block ×3, first 2 shown]
	v_pk_add_f32 v[68:69], v[68:69], v[134:135]
	v_mov_b32_e32 v42, v71
	v_mov_b32_e32 v58, v38
	v_mov_b32_e32 v134, v68
	v_mov_b32_e32 v135, v114
	v_pk_add_f32 v[70:71], v[42:43], v[58:59]
	v_pk_add_f32 v[62:63], v[116:117], v[62:63]
	s_mov_b32 s30, s4
	s_mov_b32 s31, s99
	v_pk_mul_f32 v[136:137], v[134:135], s[98:99]
	v_mov_b32_e32 v140, v71
	v_mov_b32_e32 v141, v102
	;; [unrolled: 1-line block ×4, first 2 shown]
	v_pk_mul_f32 v[130:131], v[114:115], s[30:31]
	s_mov_b32 s25, s98
	v_mov_b32_e32 v139, v136
	v_pk_mul_f32 v[142:143], v[140:141], s[94:95]
	v_pk_add_f32 v[60:61], v[62:63], v[60:61]
	v_pk_fma_f32 v[134:135], v[134:135], s[98:99], v[138:139]
	v_pk_fma_f32 v[138:139], v[68:69], s[24:25], v[130:131]
	v_pk_fma_f32 v[130:131], v[68:69], s[24:25], v[130:131] neg_lo:[0,0,1] neg_hi:[0,0,1]
	v_mov_b32_e32 v145, v142
	v_mov_b32_e32 v62, v61
	;; [unrolled: 1-line block ×3, first 2 shown]
	s_mov_b32 s24, s6
	s_mov_b32 s25, s92
	v_pk_add_f32 v[58:59], v[42:43], v[58:59] neg_lo:[0,1] neg_hi:[0,1]
	v_mov_b32_e32 v116, v105
	v_mov_b32_e32 v117, v110
	v_pk_fma_f32 v[140:141], v[140:141], s[94:95], v[144:145]
	v_pk_mul_f32 v[144:145], v[62:63], s[24:25]
	v_mov_b32_e32 v62, v58
	v_mov_b32_e32 v63, v71
	s_mov_b32 s24, s7
	s_mov_b32 s25, s57
	v_pk_mul_f32 v[150:151], v[116:117], s[80:81]
	v_pk_mul_f32 v[146:147], v[62:63], s[24:25]
	v_pk_fma_f32 v[148:149], v[62:63], s[24:25], v[144:145]
	v_mov_b32_e32 v63, v150
	v_mov_b32_e32 v112, v51
	v_pk_fma_f32 v[152:153], v[116:117], s[80:81], v[62:63]
	v_mov_b32_e32 v62, v69
	v_mov_b32_e32 v63, v115
	v_pk_add_f32 v[50:51], v[60:61], v[112:113]
	v_pk_mul_f32 v[112:113], v[60:61], v[112:113]
	v_pk_mul_f32 v[154:155], v[62:63], s[12:13]
	;; [unrolled: 1-line block ×3, first 2 shown]
	v_mov_b32_e32 v51, v113
	v_mov_b32_e32 v134, v49
	v_mul_f32_e32 v49, 0xbeb8f4ab, v58
	v_mov_b32_e32 v48, v41
	v_mov_b32_e32 v157, v154
	;; [unrolled: 1-line block ×4, first 2 shown]
	v_pk_add_f32 v[40:41], v[50:51], v[48:49]
	v_pk_fma_f32 v[156:157], v[62:63], s[12:13], v[156:157]
	v_pk_fma_f32 v[62:63], v[116:117], s[12:13], v[0:1]
	v_pk_fma_f32 v[116:117], v[116:117], s[12:13], v[158:159] neg_lo:[1,0,0] neg_hi:[1,0,0]
	v_mov_b32_e32 v158, v107
	v_mov_b32_e32 v159, v108
	;; [unrolled: 1-line block ×3, first 2 shown]
	v_pk_add_f32 v[40:41], v[40:41], v[44:45]
	v_pk_mul_f32 v[160:161], v[158:159], s[6:7]
	v_mov_b32_e32 v124, v53
	v_pk_add_f32 v[40:41], v[40:41], v[140:141]
	v_mov_b32_e32 v163, v160
	v_mov_b32_e32 v118, v55
	v_pk_add_f32 v[40:41], v[40:41], v[124:125]
	v_pk_fma_f32 v[158:159], v[158:159], s[6:7], v[162:163]
	v_mov_b32_e32 v156, v57
	v_pk_add_f32 v[40:41], v[40:41], v[118:119]
	v_readlane_b32 s6, v198, 22
	v_pk_mul_f32 v[162:163], v[58:59], s[16:17] op_sel_hi:[0,1]
	v_pk_add_f32 v[40:41], v[40:41], v[156:157]
	v_readlane_b32 s7, v198, 23
	v_pk_mul_f32 v[164:165], v[102:103], s[26:27] op_sel_hi:[0,1]
	v_mov_b32_e32 v52, v144
	v_mov_b32_e32 v53, v147
	;; [unrolled: 1-line block ×4, first 2 shown]
	v_pk_add_f32 v[40:41], v[40:41], v[134:135]
	v_pk_fma_f32 v[118:119], v[60:61], s[6:7], v[162:163] op_sel:[1,0,0]
	v_pk_mul_f32 v[166:167], v[66:67], s[20:21] op_sel:[1,0]
	v_fmac_f32_e32 v113, 0x3eb8f4ab, v58
	v_mov_b32_e32 v0, v45
	v_pk_add_f32 v[52:53], v[52:53], v[146:147] neg_lo:[0,1] neg_hi:[0,1]
	v_pk_add_f32 v[40:41], v[152:153], v[40:41]
	v_mov_b32_e32 v158, v39
	v_pk_fma_f32 v[38:39], v[70:71], s[28:29], v[164:165] op_sel:[1,0,0]
	v_pk_add_f32 v[118:119], v[118:119], v[44:45] op_sel:[0,1]
	v_pk_mul_f32 v[168:169], v[66:67], s[22:23] op_sel_hi:[0,1]
	v_add_f32_e32 v18, v113, v45
	v_pk_add_f32 v[46:47], v[148:149], v[0:1]
	v_pk_add_f32 v[54:55], v[52:53], v[0:1]
	v_mov_b32_e32 v0, v149
	v_pk_add_f32 v[112:113], v[158:159], v[40:41]
	v_pk_fma_f32 v[40:41], v[64:65], s[14:15], v[166:167] op_sel:[1,0,0]
	v_pk_add_f32 v[38:39], v[118:119], v[38:39]
	v_pk_add_f32 v[46:47], v[46:47], v[0:1]
	v_mov_b32_e32 v0, v53
	v_pk_fma_f32 v[42:43], v[64:65], s[74:75], v[168:169] op_sel_hi:[0,1,1]
	v_pk_mul_f32 v[48:49], v[114:115], s[34:35] op_sel:[1,0]
	v_pk_add_f32 v[38:39], v[38:39], v[40:41]
	v_pk_add_f32 v[52:53], v[54:55], v[0:1]
	v_pk_fma_f32 v[50:51], v[68:69], s[10:11], v[48:49] op_sel:[1,0,0]
	v_pk_mul_f32 v[54:55], v[114:115], s[60:61] op_sel_hi:[0,1]
	v_pk_add_f32 v[38:39], v[42:43], v[38:39]
	v_pk_fma_f32 v[56:57], v[68:69], s[56:57], v[54:55] op_sel_hi:[0,1,1]
	v_pk_add_f32 v[38:39], v[50:51], v[38:39]
	v_pk_mul_f32 v[40:41], v[110:111], s[4:5] op_sel_hi:[0,1]
	v_mov_b32_e32 v0, v121
	v_pk_add_f32 v[38:39], v[56:57], v[38:39]
	v_pk_fma_f32 v[42:43], v[104:105], s[2:3], v[40:41] op_sel:[1,0,0]
	v_pk_add_f32 v[46:47], v[46:47], v[0:1]
	v_pk_add_f32 v[38:39], v[42:43], v[38:39]
	v_pk_mul_f32 v[42:43], v[108:109], s[92:93] op_sel_hi:[0,1]
	v_pk_add_f32 v[46:47], v[120:121], v[46:47]
	v_pk_fma_f32 v[50:51], v[106:107], s[8:9], v[42:43] op_sel:[1,0,0]
	v_pk_fma_f32 v[120:121], v[60:61], s[6:7], v[162:163] op_sel:[1,0,0] neg_lo:[0,0,1] neg_hi:[0,0,1]
	v_pk_add_f32 v[118:119], v[50:51], v[38:39]
	v_pk_fma_f32 v[38:39], v[70:71], s[28:29], v[164:165] op_sel:[1,0,0] neg_lo:[0,0,1] neg_hi:[0,0,1]
	v_pk_add_f32 v[120:121], v[120:121], v[44:45] op_sel:[0,1]
	v_pk_fma_f32 v[50:51], v[64:65], s[14:15], v[166:167] op_sel:[1,0,0] neg_lo:[0,0,1] neg_hi:[0,0,1]
	v_pk_add_f32 v[38:39], v[120:121], v[38:39]
	v_pk_fma_f32 v[56:57], v[64:65], s[74:75], v[168:169] op_sel_hi:[0,1,1] neg_lo:[0,0,1] neg_hi:[0,0,1]
	v_pk_add_f32 v[38:39], v[38:39], v[50:51]
	v_pk_fma_f32 v[48:49], v[68:69], s[10:11], v[48:49] op_sel:[1,0,0] neg_lo:[0,0,1] neg_hi:[0,0,1]
	v_pk_add_f32 v[38:39], v[56:57], v[38:39]
	v_pk_fma_f32 v[54:55], v[68:69], s[56:57], v[54:55] op_sel_hi:[0,1,1] neg_lo:[0,0,1] neg_hi:[0,0,1]
	v_pk_add_f32 v[38:39], v[48:49], v[38:39]
	v_pk_fma_f32 v[40:41], v[104:105], s[2:3], v[40:41] op_sel:[1,0,0] neg_lo:[0,0,1] neg_hi:[0,0,1]
	v_pk_add_f32 v[38:39], v[54:55], v[38:39]
	v_sub_f32_e32 v16, v142, v143
	v_pk_add_f32 v[38:39], v[40:41], v[38:39]
	v_pk_fma_f32 v[40:41], v[106:107], s[8:9], v[42:43] op_sel:[1,0,0] neg_lo:[0,0,1] neg_hi:[0,0,1]
	v_readlane_b32 s2, v198, 24
	v_sub_f32_e32 v6, v132, v133
	v_add_f32_e32 v16, v18, v16
	v_pk_add_f32 v[120:121], v[40:41], v[38:39]
	v_pk_mul_f32 v[38:39], v[58:59], s[68:69] op_sel_hi:[0,1]
	v_readlane_b32 s3, v198, 25
	v_sub_f32_e32 v10, v128, v129
	v_add_f32_e32 v6, v16, v6
	v_mov_b32_e32 v0, v123
	v_pk_mul_f32 v[40:41], v[102:103], s[2:3] op_sel_hi:[0,1]
	v_pk_fma_f32 v[132:133], v[60:61], s[76:77], v[38:39] op_sel:[1,0,0]
	v_sub_f32_e32 v12, v154, v155
	v_pk_add_f32 v[52:53], v[52:53], v[0:1]
	v_add_f32_e32 v0, v10, v6
	v_pk_fma_f32 v[42:43], v[70:71], s[78:79], v[40:41] op_sel:[1,0,0]
	v_pk_mul_f32 v[48:49], v[66:67], s[70:71] op_sel:[1,0]
	v_pk_add_f32 v[132:133], v[132:133], v[44:45] op_sel:[0,1]
	v_add_f32_e32 v6, v12, v0
	v_mov_b32_e32 v0, v139
	v_pk_fma_f32 v[50:51], v[64:65], s[0:1], v[48:49] op_sel:[1,0,0]
	v_pk_mul_f32 v[54:55], v[66:67], s[86:87] op_sel_hi:[0,1]
	v_pk_add_f32 v[42:43], v[132:133], v[42:43]
	v_pk_add_f32 v[52:53], v[122:123], v[52:53]
	;; [unrolled: 1-line block ×3, first 2 shown]
	v_mov_b32_e32 v0, v131
	v_pk_fma_f32 v[56:57], v[64:65], s[82:83], v[54:55] op_sel_hi:[0,1,1]
	v_pk_mul_f32 v[122:123], v[114:115], s[88:89] op_sel:[1,0]
	v_readlane_b32 s4, v198, 16
	v_pk_add_f32 v[42:43], v[42:43], v[50:51]
	v_pk_add_f32 v[52:53], v[0:1], v[52:53]
	v_pk_fma_f32 v[124:125], v[68:69], s[18:19], v[122:123] op_sel:[1,0,0]
	v_pk_mul_f32 v[128:129], v[114:115], s[58:59] op_sel_hi:[0,1]
	v_readlane_b32 s5, v198, 17
	v_pk_add_f32 v[42:43], v[56:57], v[42:43]
	v_readlane_b32 s2, v198, 18
	v_pk_add_f32 v[52:53], v[130:131], v[52:53]
	v_pk_fma_f32 v[130:131], v[68:69], s[4:5], v[128:129] op_sel_hi:[0,1,1]
	v_pk_add_f32 v[42:43], v[124:125], v[42:43]
	v_pk_mul_f32 v[50:51], v[110:111], s[52:53] op_sel_hi:[0,1]
	v_readlane_b32 s3, v198, 19
	v_pk_add_f32 v[42:43], v[130:131], v[42:43]
	v_readlane_b32 s6, v198, 20
	v_pk_fma_f32 v[56:57], v[104:105], s[2:3], v[50:51] op_sel:[1,0,0]
	v_readlane_b32 s7, v198, 21
	v_pk_add_f32 v[42:43], v[56:57], v[42:43]
	v_pk_mul_f32 v[56:57], v[108:109], s[90:91] op_sel_hi:[0,1]
	v_pk_fma_f32 v[38:39], v[60:61], s[76:77], v[38:39] op_sel:[1,0,0] neg_lo:[0,0,1] neg_hi:[0,0,1]
	v_pk_fma_f32 v[124:125], v[106:107], s[6:7], v[56:57] op_sel:[1,0,0]
	v_pk_fma_f32 v[40:41], v[70:71], s[78:79], v[40:41] op_sel:[1,0,0] neg_lo:[0,0,1] neg_hi:[0,0,1]
	v_pk_add_f32 v[38:39], v[38:39], v[44:45] op_sel:[0,1]
	v_pk_add_f32 v[124:125], v[124:125], v[42:43]
	v_pk_fma_f32 v[42:43], v[64:65], s[0:1], v[48:49] op_sel:[1,0,0] neg_lo:[0,0,1] neg_hi:[0,0,1]
	v_pk_add_f32 v[38:39], v[38:39], v[40:41]
	v_pk_fma_f32 v[48:49], v[64:65], s[82:83], v[54:55] op_sel_hi:[0,1,1] neg_lo:[0,0,1] neg_hi:[0,0,1]
	v_pk_add_f32 v[38:39], v[38:39], v[42:43]
	v_pk_fma_f32 v[54:55], v[68:69], s[18:19], v[122:123] op_sel:[1,0,0] neg_lo:[0,0,1] neg_hi:[0,0,1]
	v_pk_add_f32 v[38:39], v[48:49], v[38:39]
	v_pk_fma_f32 v[122:123], v[68:69], s[4:5], v[128:129] op_sel_hi:[0,1,1] neg_lo:[0,0,1] neg_hi:[0,0,1]
	v_pk_add_f32 v[38:39], v[54:55], v[38:39]
	v_pk_fma_f32 v[40:41], v[104:105], s[2:3], v[50:51] op_sel:[1,0,0] neg_lo:[0,0,1] neg_hi:[0,0,1]
	v_pk_add_f32 v[38:39], v[122:123], v[38:39]
	v_readlane_b32 s0, v198, 28
	v_pk_add_f32 v[38:39], v[40:41], v[38:39]
	v_pk_fma_f32 v[40:41], v[106:107], s[6:7], v[56:57] op_sel:[1,0,0] neg_lo:[0,0,1] neg_hi:[0,0,1]
	v_readlane_b32 s1, v198, 29
	v_pk_add_f32 v[122:123], v[40:41], v[38:39]
	v_readlane_b32 s2, v198, 12
	v_pk_mul_f32 v[38:39], v[58:59], s[0:1] op_sel_hi:[0,1]
	v_readlane_b32 s0, v198, 26
	v_readlane_b32 s1, v198, 27
	;; [unrolled: 1-line block ×3, first 2 shown]
	v_pk_mul_f32 v[48:49], v[66:67], s[36:37] op_sel:[1,0]
	v_pk_mul_f32 v[40:41], v[102:103], s[0:1] op_sel_hi:[0,1]
	v_readlane_b32 s0, v198, 14
	v_readlane_b32 s1, v198, 15
	v_pk_fma_f32 v[128:129], v[60:61], s[2:3], v[38:39] op_sel:[1,0,0]
	v_pk_fma_f32 v[50:51], v[64:65], s[42:43], v[48:49] op_sel:[1,0,0]
	;; [unrolled: 1-line block ×3, first 2 shown]
	v_pk_add_f32 v[128:129], v[128:129], v[44:45] op_sel:[0,1]
	v_pk_mul_f32 v[54:55], v[66:67], s[62:63] op_sel_hi:[0,1]
	v_pk_add_f32 v[42:43], v[128:129], v[42:43]
	v_pk_fma_f32 v[56:57], v[64:65], s[46:47], v[54:55] op_sel_hi:[0,1,1]
	v_pk_mul_f32 v[58:59], v[114:115], s[72:73] op_sel:[1,0]
	v_pk_add_f32 v[42:43], v[42:43], v[50:51]
	v_pk_fma_f32 v[66:67], v[68:69], s[38:39], v[58:59] op_sel:[1,0,0]
	v_pk_mul_f32 v[102:103], v[114:115], s[50:51] op_sel_hi:[0,1]
	v_pk_add_f32 v[42:43], v[56:57], v[42:43]
	v_pk_fma_f32 v[114:115], v[68:69], s[64:65], v[102:103] op_sel_hi:[0,1,1]
	v_pk_add_f32 v[42:43], v[66:67], v[42:43]
	v_pk_mul_f32 v[50:51], v[110:111], s[48:49] op_sel_hi:[0,1]
	v_pk_add_f32 v[42:43], v[114:115], v[42:43]
	v_pk_fma_f32 v[56:57], v[104:105], s[44:45], v[50:51] op_sel:[1,0,0]
	v_pk_fma_f32 v[38:39], v[60:61], s[2:3], v[38:39] op_sel:[1,0,0] neg_lo:[0,0,1] neg_hi:[0,0,1]
	v_pk_add_f32 v[42:43], v[56:57], v[42:43]
	v_pk_mul_f32 v[56:57], v[108:109], s[54:55] op_sel_hi:[0,1]
	v_pk_fma_f32 v[66:67], v[106:107], s[66:67], v[56:57] op_sel:[1,0,0]
	v_pk_fma_f32 v[40:41], v[70:71], s[0:1], v[40:41] op_sel:[1,0,0] neg_lo:[0,0,1] neg_hi:[0,0,1]
	v_pk_add_f32 v[38:39], v[38:39], v[44:45] op_sel:[0,1]
	v_pk_add_f32 v[110:111], v[66:67], v[42:43]
	v_pk_fma_f32 v[42:43], v[64:65], s[42:43], v[48:49] op_sel:[1,0,0] neg_lo:[0,0,1] neg_hi:[0,0,1]
	v_pk_add_f32 v[38:39], v[38:39], v[40:41]
	v_pk_fma_f32 v[48:49], v[64:65], s[46:47], v[54:55] op_sel_hi:[0,1,1] neg_lo:[0,0,1] neg_hi:[0,0,1]
	v_pk_add_f32 v[38:39], v[38:39], v[42:43]
	v_pk_fma_f32 v[54:55], v[68:69], s[38:39], v[58:59] op_sel:[1,0,0] neg_lo:[0,0,1] neg_hi:[0,0,1]
	v_pk_add_f32 v[38:39], v[48:49], v[38:39]
	v_pk_fma_f32 v[58:59], v[68:69], s[64:65], v[102:103] op_sel_hi:[0,1,1] neg_lo:[0,0,1] neg_hi:[0,0,1]
	v_pk_add_f32 v[38:39], v[54:55], v[38:39]
	v_sub_f32_e32 v14, v136, v137
	v_pk_add_f32 v[38:39], v[58:59], v[38:39]
	v_pk_fma_f32 v[40:41], v[104:105], s[44:45], v[50:51] op_sel:[1,0,0] neg_lo:[0,0,1] neg_hi:[0,0,1]
	v_add_f32_e32 v0, v14, v6
	v_sub_f32_e32 v6, v150, v151
	v_pk_add_f32 v[38:39], v[40:41], v[38:39]
	v_pk_fma_f32 v[40:41], v[106:107], s[66:67], v[56:57] op_sel:[1,0,0] neg_lo:[0,0,1] neg_hi:[0,0,1]
	v_pk_add_f32 v[46:47], v[138:139], v[46:47]
	v_add_f32_e32 v0, v6, v0
	v_sub_f32_e32 v6, v160, v161
	v_pk_add_f32 v[114:115], v[40:41], v[38:39]
	v_mul_f32_e32 v38, 0x3dbcf732, v107
	v_mul_f32_e32 v116, 0x3f7ee86f, v108
	v_mov_b32_e32 v39, v52
	v_add_f32_e32 v6, v6, v0
	v_pk_add_f32 v[40:41], v[38:39], v[116:117]
	v_mov_b32_e32 v42, v46
	v_mov_b32_e32 v43, v38
	;; [unrolled: 1-line block ×4, first 2 shown]
	v_lshlrev_b32_e32 v0, 6, v126
	v_pk_add_f32 v[44:45], v[46:47], v[62:63]
	v_pk_add_f32 v[38:39], v[42:43], v[38:39] neg_lo:[0,1] neg_hi:[0,1]
	v_sub_u32_e32 v62, v127, v0
	v_mov_b32_e32 v45, v39
	v_add_u32_e32 v69, 0x400, v62
	v_add_u32_e32 v68, 0xc00, v62
	;; [unrolled: 1-line block ×8, first 2 shown]
	v_pk_add_f32 v[108:109], v[40:41], v[44:45]
	s_waitcnt lgkmcnt(0)
	; wave barrier
	s_waitcnt lgkmcnt(0)
	ds_read2_b32 v[44:45], v62 offset1:51
	ds_read2_b32 v[38:39], v69 offset0:152 offset1:203
	ds_read2_b32 v[60:61], v68 offset0:150 offset1:201
	;; [unrolled: 1-line block ×9, first 2 shown]
	v_lshl_add_u32 v63, v64, 2, 0
	ds_read2_b32 v[48:49], v102 offset0:200 offset1:251
	v_lshl_add_u32 v66, v65, 2, 0
	ds_read2_b32 v[46:47], v68 offset0:48 offset1:99
	ds_read_b32 v104, v66
	ds_read_b32 v105, v63
	ds_read_b32 v106, v62 offset:5304
	v_add_u32_e32 v67, 51, v126
	s_waitcnt lgkmcnt(0)
	; wave barrier
	s_waitcnt lgkmcnt(0)
	ds_write2_b32 v127, v112, v113 offset1:1
	ds_write2_b32 v127, v118, v119 offset0:2 offset1:3
	ds_write2_b32 v127, v124, v125 offset0:4 offset1:5
	ds_write2_b32 v127, v110, v111 offset0:6 offset1:7
	ds_write2_b32 v127, v108, v109 offset0:8 offset1:9
	ds_write2_b32 v127, v115, v114 offset0:10 offset1:11
	ds_write2_b32 v127, v123, v122 offset0:12 offset1:13
	v_mov_b32_e32 v0, v121
	ds_write2_b32 v127, v121, v120 offset0:14 offset1:15
	ds_write_b32 v127, v6 offset:64
	s_and_saveexec_b64 s[0:1], vcc
	s_cbranch_execz .LBB0_19
; %bb.18:
	v_mov_b32_e32 v0, v29
	v_pk_add_f32 v[28:29], v[0:1], v[8:9]
	s_mov_b32 s6, 0x3f3d2fb0
	v_pk_add_f32 v[28:29], v[28:29], v[36:37]
	s_mov_b32 s7, 0xbf2c7751
	;; [unrolled: 2-line block ×4, first 2 shown]
	v_pk_add_f32 v[28:29], v[28:29], v[30:31]
	v_mov_b32_e32 v30, v73
	v_mov_b32_e32 v31, v96
	v_pk_mul_f32 v[34:35], v[30:31], s[6:7]
	s_mov_b32 s11, 0xbf7ee86f
	v_mov_b32_e32 v37, v34
	v_pk_fma_f32 v[108:109], v[30:31], s[6:7], v[36:37]
	v_mov_b32_e32 v30, v75
	v_mov_b32_e32 v31, v98
	v_sub_f32_e32 v107, v34, v35
	v_pk_mul_f32 v[34:35], v[30:31], s[2:3]
	s_mov_b32 s10, 0x3dbcf732
	v_mov_b32_e32 v37, v34
	v_pk_fma_f32 v[110:111], v[30:31], s[2:3], v[36:37]
	v_mov_b32_e32 v30, v83
	v_mov_b32_e32 v31, v100
	v_sub_f32_e32 v122, v34, v35
	v_pk_mul_f32 v[34:35], v[30:31], s[10:11]
	s_mov_b32 s16, 0xbe8c1d8e
	v_mov_b32_e32 v37, v34
	v_pk_fma_f32 v[112:113], v[30:31], s[10:11], v[36:37]
	v_mov_b32_e32 v30, v85
	v_mov_b32_e32 v31, v92
	s_mov_b32 s17, 0xbf763a35
	v_sub_f32_e32 v123, v34, v35
	v_pk_mul_f32 v[34:35], v[30:31], s[16:17]
	s_mov_b32 s18, 0xbf1a4643
	v_mov_b32_e32 v37, v34
	v_pk_fma_f32 v[114:115], v[30:31], s[16:17], v[36:37]
	s_mov_b32 s19, 0xbf4c4adb
	v_mov_b32_e32 v30, v87
	v_mov_b32_e32 v31, v90
	v_sub_f32_e32 v124, v34, v35
	v_pk_mul_f32 v[34:35], v[30:31], s[18:19]
	v_mov_b32_e32 v8, v29
	v_mov_b32_e32 v37, v34
	v_mov_b32_e32 v6, v27
	v_pk_fma_f32 v[116:117], v[30:31], s[18:19], v[36:37]
	v_pk_add_f32 v[36:37], v[8:9], v[6:7]
	v_mov_b32_e32 v9, 0x3f6eb680
	v_mov_b32_e32 v8, v25
	v_pk_add_f32 v[120:121], v[36:37], v[8:9]
	v_pk_mul_f32 v[8:9], v[36:37], v[8:9]
	v_mul_f32_e32 v33, 0xbeb8f4ab, v94
	v_mov_b32_e32 v121, v9
	v_fmac_f32_e32 v9, 0x3eb8f4ab, v94
	v_mov_b32_e32 v32, v19
	v_add_f32_e32 v6, v1, v9
	s_mov_b32 s14, 0xbf59a7d5
	v_pk_add_f32 v[32:33], v[120:121], v[32:33]
	v_add_f32_e32 v6, v6, v107
	s_mov_b32 s15, 0xbf06c442
	v_sub_f32_e32 v125, v34, v35
	v_mov_b32_e32 v34, v81
	v_mov_b32_e32 v35, v88
	v_pk_add_f32 v[32:33], v[32:33], v[0:1]
	v_mov_b32_e32 v108, v15
	v_add_f32_e32 v6, v6, v122
	s_mov_b32 s4, 0xbf7ba420
	v_pk_mul_f32 v[118:119], v[34:35], s[14:15]
	v_pk_add_f32 v[32:33], v[108:109], v[32:33]
	v_mov_b32_e32 v110, v13
	v_add_f32_e32 v6, v6, v123
	s_mov_b32 s5, 0xbe3c28d5
	v_mul_f32_e32 v30, 0x3f65296c, v90
	v_mov_b32_e32 v31, v118
	v_pk_add_f32 v[32:33], v[110:111], v[32:33]
	v_mov_b32_e32 v112, v23
	v_add_f32_e32 v6, v6, v124
	v_mov_b32_e32 v110, v77
	v_mov_b32_e32 v111, v78
	v_pk_fma_f32 v[34:35], v[34:35], s[14:15], v[30:31]
	v_pk_add_f32 v[32:33], v[112:113], v[32:33]
	v_mov_b32_e32 v114, v21
	v_add_f32_e32 v6, v6, v125
	v_sub_f32_e32 v8, v118, v119
	v_pk_mul_f32 v[112:113], v[110:111], s[4:5]
	v_pk_add_f32 v[32:33], v[114:115], v[32:33]
	v_mov_b32_e32 v116, v17
	v_mov_b32_e32 v34, v11
	v_add_f32_e32 v11, v6, v8
	v_mul_f32_e32 v8, 0xbe8c1d8e, v81
	v_mov_b32_e32 v9, v112
	v_pk_add_f32 v[32:33], v[116:117], v[32:33]
	v_pk_fma_f32 v[110:111], v[110:111], s[4:5], v[8:9]
	v_pk_add_f32 v[108:109], v[34:35], v[32:33]
	v_mov_b32_e32 v110, v7
	s_mov_b32 s26, s7
	s_mov_b32 s27, s3
	v_pk_add_f32 v[6:7], v[110:111], v[108:109]
	v_pk_mul_f32 v[108:109], v[94:95], s[26:27] op_sel_hi:[0,1]
	s_mov_b32 s26, s11
	s_mov_b32 s27, s19
	;; [unrolled: 1-line block ×6, first 2 shown]
	v_pk_mul_f32 v[110:111], v[96:97], s[26:27] op_sel_hi:[0,1]
	s_mov_b32 s27, 0x3e3c28d5
	s_mov_b32 s26, s19
	v_pk_fma_f32 v[132:133], v[36:37], s[38:39], v[108:109] op_sel:[1,0,0]
	v_sub_f32_e32 v9, v112, v113
	v_pk_fma_f32 v[112:113], v[72:73], s[28:29], v[110:111] op_sel:[1,0,0]
	s_mov_b32 s30, s18
	s_mov_b32 s31, s4
	v_pk_mul_f32 v[114:115], v[98:99], s[26:27] op_sel_hi:[0,1]
	s_mov_b32 s27, 0x3f763a35
	s_mov_b32 s26, s5
	v_pk_add_f32 v[132:133], v[0:1], v[132:133] op_sel:[1,0]
	s_mov_b32 s21, 0x3f2c7751
	v_pk_fma_f32 v[116:117], v[74:75], s[30:31], v[114:115] op_sel:[1,0,0]
	s_mov_b32 s34, s4
	s_mov_b32 s35, s16
	v_pk_mul_f32 v[118:119], v[100:101], s[26:27] op_sel_hi:[0,1]
	s_mov_b32 s20, 0x3f06c442
	v_pk_add_f32 v[112:113], v[132:133], v[112:113]
	s_mov_b32 s9, 0xbeb8f4ab
	v_pk_fma_f32 v[120:121], v[82:83], s[34:35], v[118:119] op_sel:[1,0,0]
	s_mov_b32 s36, s14
	s_mov_b32 s37, s6
	v_pk_mul_f32 v[122:123], v[92:93], s[20:21] op_sel_hi:[0,1]
	s_mov_b32 s8, s27
	v_pk_add_f32 v[112:113], v[112:113], v[116:117]
	s_mov_b32 s13, 0x3f6eb680
	s_mov_b32 s22, 0x3f65296c
	v_pk_fma_f32 v[124:125], v[84:85], s[36:37], v[122:123] op_sel:[1,0,0]
	s_mov_b32 s12, s16
	v_pk_mul_f32 v[128:129], v[90:91], s[8:9] op_sel_hi:[0,1]
	v_pk_add_f32 v[112:113], v[112:113], v[120:121]
	s_mov_b32 s23, s11
	v_pk_fma_f32 v[108:109], v[36:37], s[38:39], v[108:109] op_sel:[1,0,0] neg_lo:[0,0,1] neg_hi:[0,0,1]
	v_pk_fma_f32 v[130:131], v[86:87], s[12:13], v[128:129] op_sel:[1,0,0]
	v_pk_add_f32 v[112:113], v[112:113], v[124:125]
	s_mov_b32 s40, s2
	s_mov_b32 s41, s10
	v_pk_mul_f32 v[116:117], v[88:89], s[22:23] op_sel_hi:[0,1]
	v_pk_fma_f32 v[110:111], v[72:73], s[28:29], v[110:111] op_sel:[1,0,0] neg_lo:[0,0,1] neg_hi:[0,0,1]
	v_pk_add_f32 v[108:109], v[0:1], v[108:109] op_sel:[1,0]
	s_mov_b32 s24, 0x3eb8f4ab
	v_pk_add_f32 v[112:113], v[112:113], v[130:131]
	v_pk_fma_f32 v[120:121], v[80:81], s[40:41], v[116:117] op_sel:[1,0,0]
	s_mov_b32 s25, s15
	v_pk_fma_f32 v[114:115], v[74:75], s[30:31], v[114:115] op_sel:[1,0,0] neg_lo:[0,0,1] neg_hi:[0,0,1]
	v_pk_add_f32 v[108:109], v[108:109], v[110:111]
	v_pk_add_f32 v[112:113], v[112:113], v[120:121]
	s_mov_b32 s42, s13
	s_mov_b32 s43, s14
	v_pk_mul_f32 v[120:121], v[78:79], s[24:25] op_sel_hi:[0,1]
	v_pk_fma_f32 v[118:119], v[82:83], s[34:35], v[118:119] op_sel:[1,0,0] neg_lo:[0,0,1] neg_hi:[0,0,1]
	v_pk_add_f32 v[108:109], v[108:109], v[114:115]
	v_pk_fma_f32 v[124:125], v[76:77], s[42:43], v[120:121] op_sel:[1,0,0]
	v_pk_fma_f32 v[122:123], v[84:85], s[36:37], v[122:123] op_sel:[1,0,0] neg_lo:[0,0,1] neg_hi:[0,0,1]
	v_pk_add_f32 v[108:109], v[108:109], v[118:119]
	v_pk_add_f32 v[112:113], v[112:113], v[124:125]
	v_pk_fma_f32 v[124:125], v[86:87], s[12:13], v[128:129] op_sel:[1,0,0] neg_lo:[0,0,1] neg_hi:[0,0,1]
	v_pk_add_f32 v[108:109], v[108:109], v[122:123]
	v_pk_fma_f32 v[110:111], v[80:81], s[40:41], v[116:117] op_sel:[1,0,0] neg_lo:[0,0,1] neg_hi:[0,0,1]
	v_pk_add_f32 v[108:109], v[108:109], v[124:125]
	s_mov_b32 s28, s11
	v_pk_add_f32 v[108:109], v[108:109], v[110:111]
	v_pk_fma_f32 v[110:111], v[76:77], s[42:43], v[120:121] op_sel:[1,0,0] neg_lo:[0,0,1] neg_hi:[0,0,1]
	s_mov_b32 s29, s17
	v_pk_add_f32 v[108:109], v[108:109], v[110:111]
	v_pk_mul_f32 v[110:111], v[94:95], s[28:29] op_sel_hi:[0,1]
	s_mov_b32 s30, s5
	s_mov_b32 s31, s20
	;; [unrolled: 1-line block ×6, first 2 shown]
	v_pk_mul_f32 v[114:115], v[96:97], s[30:31] op_sel_hi:[0,1]
	s_mov_b32 s20, s27
	v_pk_fma_f32 v[136:137], v[36:37], s[40:41], v[110:111] op_sel:[1,0,0]
	v_pk_fma_f32 v[116:117], v[72:73], s[28:29], v[114:115] op_sel:[1,0,0]
	s_mov_b32 s30, s16
	s_mov_b32 s31, s6
	v_pk_mul_f32 v[118:119], v[98:99], s[20:21] op_sel_hi:[0,1]
	s_mov_b32 s25, s3
	v_pk_add_f32 v[136:137], v[0:1], v[136:137] op_sel:[1,0]
	v_pk_fma_f32 v[120:121], v[74:75], s[30:31], v[118:119] op_sel:[1,0,0]
	s_mov_b32 s34, s13
	s_mov_b32 s35, s2
	v_pk_mul_f32 v[122:123], v[100:101], s[24:25] op_sel_hi:[0,1]
	s_mov_b32 s36, s3
	s_mov_b32 s37, s5
	v_pk_add_f32 v[116:117], v[136:137], v[116:117]
	v_pk_fma_f32 v[124:125], v[82:83], s[34:35], v[122:123] op_sel:[1,0,0]
	s_mov_b32 s24, s2
	s_mov_b32 s25, s4
	v_pk_mul_f32 v[128:129], v[92:93], s[36:37] op_sel_hi:[0,1]
	s_mov_b32 s39, 0x3f7ee86f
	s_mov_b32 s38, s15
	v_pk_add_f32 v[116:117], v[116:117], v[120:121]
	v_pk_fma_f32 v[130:131], v[84:85], s[24:25], v[128:129] op_sel:[1,0,0]
	s_mov_b32 s36, s14
	s_mov_b32 s37, s10
	v_pk_mul_f32 v[132:133], v[90:91], s[38:39] op_sel_hi:[0,1]
	v_pk_add_f32 v[116:117], v[116:117], v[124:125]
	s_mov_b32 s8, 0x3f4c4adb
	v_pk_fma_f32 v[110:111], v[36:37], s[40:41], v[110:111] op_sel:[1,0,0] neg_lo:[0,0,1] neg_hi:[0,0,1]
	v_pk_fma_f32 v[134:135], v[86:87], s[36:37], v[132:133] op_sel:[1,0,0]
	v_pk_add_f32 v[116:117], v[116:117], v[130:131]
	s_mov_b32 s12, s18
	v_pk_mul_f32 v[120:121], v[88:89], s[8:9] op_sel_hi:[0,1]
	v_pk_fma_f32 v[114:115], v[72:73], s[28:29], v[114:115] op_sel:[1,0,0] neg_lo:[0,0,1] neg_hi:[0,0,1]
	v_pk_add_f32 v[110:111], v[0:1], v[110:111] op_sel:[1,0]
	v_pk_add_f32 v[116:117], v[116:117], v[134:135]
	v_pk_fma_f32 v[124:125], v[80:81], s[12:13], v[120:121] op_sel:[1,0,0]
	s_mov_b32 s44, s21
	s_mov_b32 s45, s19
	v_pk_fma_f32 v[118:119], v[74:75], s[30:31], v[118:119] op_sel:[1,0,0] neg_lo:[0,0,1] neg_hi:[0,0,1]
	v_pk_add_f32 v[110:111], v[110:111], v[114:115]
	v_pk_add_f32 v[116:117], v[116:117], v[124:125]
	s_mov_b32 s42, s6
	s_mov_b32 s43, s18
	v_pk_mul_f32 v[124:125], v[78:79], s[44:45] op_sel_hi:[0,1]
	v_pk_fma_f32 v[122:123], v[82:83], s[34:35], v[122:123] op_sel:[1,0,0] neg_lo:[0,0,1] neg_hi:[0,0,1]
	v_pk_add_f32 v[110:111], v[110:111], v[118:119]
	v_pk_fma_f32 v[130:131], v[76:77], s[42:43], v[124:125] op_sel:[1,0,0]
	v_pk_fma_f32 v[128:129], v[84:85], s[24:25], v[128:129] op_sel:[1,0,0] neg_lo:[0,0,1] neg_hi:[0,0,1]
	v_pk_add_f32 v[110:111], v[110:111], v[122:123]
	v_pk_add_f32 v[116:117], v[116:117], v[130:131]
	v_pk_fma_f32 v[130:131], v[86:87], s[36:37], v[132:133] op_sel:[1,0,0] neg_lo:[0,0,1] neg_hi:[0,0,1]
	v_pk_add_f32 v[110:111], v[110:111], v[128:129]
	s_mov_b32 s24, s19
	s_mov_b32 s25, s15
	v_mul_f32_e32 v10, 0xbe3c28d5, v94
	v_pk_add_f32 v[110:111], v[110:111], v[130:131]
	v_pk_fma_f32 v[114:115], v[80:81], s[12:13], v[120:121] op_sel:[1,0,0] neg_lo:[0,0,1] neg_hi:[0,0,1]
	v_pk_mul_f32 v[94:95], v[94:95], s[24:25] op_sel_hi:[0,1]
	s_mov_b32 s26, s27
	s_mov_b32 s27, s22
	;; [unrolled: 1-line block ×3, first 2 shown]
	v_mul_f32_e32 v14, 0x3eb8f4ab, v96
	v_pk_add_f32 v[110:111], v[110:111], v[114:115]
	v_pk_fma_f32 v[114:115], v[76:77], s[42:43], v[124:125] op_sel:[1,0,0] neg_lo:[0,0,1] neg_hi:[0,0,1]
	s_mov_b32 s24, s16
	s_mov_b32 s25, s2
	v_pk_mul_f32 v[96:97], v[96:97], s[26:27] op_sel_hi:[0,1]
	s_mov_b32 s28, s9
	s_mov_b32 s29, s11
	v_pk_fma_f32 v[128:129], v[36:37], s[18:19], v[94:95] op_sel:[1,0,0]
	v_mul_f32_e32 v18, 0xbf06c442, v98
	v_mul_f32_e32 v34, 0xbf7ba420, v37
	v_pk_add_f32 v[110:111], v[110:111], v[114:115]
	v_pk_fma_f32 v[114:115], v[72:73], s[24:25], v[96:97] op_sel:[1,0,0]
	s_mov_b32 s26, s13
	s_mov_b32 s27, s10
	v_pk_mul_f32 v[98:99], v[98:99], s[28:29] op_sel_hi:[0,1]
	s_mov_b32 s30, s15
	s_mov_b32 s31, s8
	v_pk_add_f32 v[128:129], v[0:1], v[128:129] op_sel:[1,0]
	v_pk_fma_f32 v[36:37], v[36:37], s[18:19], v[94:95] op_sel:[1,0,0] neg_lo:[0,0,1] neg_hi:[0,0,1]
	v_mul_f32_e32 v12, 0x3f6eb680, v73
	v_mul_f32_e32 v22, 0x3f2c7751, v100
	v_pk_fma_f32 v[118:119], v[74:75], s[26:27], v[98:99] op_sel:[1,0,0]
	s_mov_b32 s28, s14
	s_mov_b32 s29, s18
	v_pk_mul_f32 v[100:101], v[100:101], s[30:31] op_sel_hi:[0,1]
	s_mov_b32 s8, s39
	v_pk_add_f32 v[114:115], v[128:129], v[114:115]
	v_pk_fma_f32 v[72:73], v[72:73], s[24:25], v[96:97] op_sel:[1,0,0] neg_lo:[0,0,1] neg_hi:[0,0,1]
	v_pk_add_f32 v[36:37], v[0:1], v[36:37] op_sel:[1,0]
	v_mul_f32_e32 v16, 0xbf59a7d5, v75
	v_mul_f32_e32 v26, 0xbf4c4adb, v92
	v_pk_fma_f32 v[120:121], v[82:83], s[28:29], v[100:101] op_sel:[1,0,0]
	s_mov_b32 s11, s13
	v_pk_mul_f32 v[92:93], v[92:93], s[8:9] op_sel_hi:[0,1]
	s_mov_b32 s12, s7
	s_mov_b32 s13, s5
	v_pk_add_f32 v[114:115], v[114:115], v[118:119]
	v_pk_fma_f32 v[74:75], v[74:75], s[26:27], v[98:99] op_sel:[1,0,0] neg_lo:[0,0,1] neg_hi:[0,0,1]
	v_pk_add_f32 v[36:37], v[36:37], v[72:73]
	v_mul_f32_e32 v20, 0x3f3d2fb0, v83
	v_pk_fma_f32 v[122:123], v[84:85], s[10:11], v[92:93] op_sel:[1,0,0]
	s_mov_b32 s8, s6
	s_mov_b32 s9, s4
	v_pk_mul_f32 v[90:91], v[90:91], s[12:13] op_sel_hi:[0,1]
	v_pk_add_f32 v[114:115], v[114:115], v[120:121]
	s_mov_b32 s20, s5
	v_pk_fma_f32 v[82:83], v[82:83], s[28:29], v[100:101] op_sel:[1,0,0] neg_lo:[0,0,1] neg_hi:[0,0,1]
	v_pk_add_f32 v[36:37], v[36:37], v[74:75]
	v_mul_f32_e32 v24, 0xbf1a4643, v85
	v_mul_f32_e32 v32, 0xbf763a35, v88
	v_pk_fma_f32 v[124:125], v[86:87], s[8:9], v[90:91] op_sel:[1,0,0]
	v_pk_add_f32 v[114:115], v[114:115], v[122:123]
	s_mov_b32 s12, s4
	s_mov_b32 s13, s6
	v_pk_mul_f32 v[88:89], v[88:89], s[20:21] op_sel_hi:[0,1]
	v_pk_fma_f32 v[84:85], v[84:85], s[10:11], v[92:93] op_sel:[1,0,0] neg_lo:[0,0,1] neg_hi:[0,0,1]
	v_pk_add_f32 v[36:37], v[36:37], v[82:83]
	v_mul_f32_e32 v28, 0x3ee437d1, v87
	v_pk_add_f32 v[114:115], v[114:115], v[124:125]
	v_pk_fma_f32 v[118:119], v[80:81], s[12:13], v[88:89] op_sel:[1,0,0]
	s_mov_b32 s23, s17
	v_pk_fma_f32 v[86:87], v[86:87], s[8:9], v[90:91] op_sel:[1,0,0] neg_lo:[0,0,1] neg_hi:[0,0,1]
	v_pk_add_f32 v[36:37], v[36:37], v[84:85]
	v_pk_add_f32 v[114:115], v[114:115], v[118:119]
	s_mov_b32 s3, s16
	v_pk_mul_f32 v[118:119], v[78:79], s[22:23] op_sel_hi:[0,1]
	v_pk_add_f32 v[36:37], v[36:37], v[86:87]
	v_pk_fma_f32 v[72:73], v[80:81], s[12:13], v[88:89] op_sel:[1,0,0] neg_lo:[0,0,1] neg_hi:[0,0,1]
	v_pk_fma_f32 v[120:121], v[76:77], s[2:3], v[118:119] op_sel:[1,0,0]
	v_pk_add_f32 v[36:37], v[36:37], v[72:73]
	v_pk_fma_f32 v[72:73], v[76:77], s[2:3], v[118:119] op_sel:[1,0,0] neg_lo:[0,0,1] neg_hi:[0,0,1]
	v_add_f32_e32 v23, v11, v9
	v_pk_add_f32 v[36:37], v[36:37], v[72:73]
	v_mul_f32_e32 v72, 0x3dbcf732, v77
	v_pk_add_f32 v[76:77], v[12:13], v[14:15]
	v_pk_add_f32 v[12:13], v[12:13], v[14:15] neg_lo:[0,1] neg_hi:[0,1]
	v_pk_add_f32 v[14:15], v[16:17], v[18:19] neg_lo:[0,1] neg_hi:[0,1]
	v_mov_b32_e32 v77, v12
	v_pk_add_f32 v[12:13], v[16:17], v[18:19]
	v_pk_add_f32 v[16:17], v[20:21], v[22:23] neg_lo:[0,1] neg_hi:[0,1]
	v_mov_b32_e32 v13, v14
	v_pk_add_f32 v[14:15], v[20:21], v[22:23]
	;; [unrolled: 3-line block ×4, first 2 shown]
	v_mul_f32_e32 v74, 0x3f7ee86f, v78
	v_mov_b32_e32 v19, v20
	v_pk_add_f32 v[20:21], v[34:35], v[10:11]
	v_pk_add_f32 v[10:11], v[34:35], v[10:11] neg_lo:[0,1] neg_hi:[0,1]
	s_movk_i32 s2, 0x44
	v_mov_b32_e32 v21, v10
	v_pk_add_f32 v[0:1], v[0:1], v[20:21] op_sel:[1,0]
	v_pk_add_f32 v[10:11], v[8:9], v[32:33]
	v_pk_add_f32 v[0:1], v[0:1], v[76:77]
	v_pk_add_f32 v[8:9], v[8:9], v[32:33] neg_lo:[0,1] neg_hi:[0,1]
	v_pk_add_f32 v[0:1], v[0:1], v[12:13]
	v_mov_b32_e32 v11, v8
	v_pk_add_f32 v[0:1], v[0:1], v[14:15]
	v_pk_add_f32 v[8:9], v[72:73], v[74:75]
	;; [unrolled: 1-line block ×5, first 2 shown]
	s_nop 0
	v_pk_add_f32 v[0:1], v[0:1], v[10:11]
	v_pk_add_f32 v[10:11], v[72:73], v[74:75] neg_lo:[0,1] neg_hi:[0,1]
	s_nop 0
	v_mov_b32_e32 v9, v10
	v_pk_add_f32 v[0:1], v[0:1], v[8:9]
	v_mad_u32_u24 v8, v67, s2, 0
	ds_write2_b32 v8, v6, v7 offset1:1
	ds_write2_b32 v8, v112, v113 offset0:2 offset1:3
	ds_write2_b32 v8, v116, v117 offset0:4 offset1:5
	;; [unrolled: 1-line block ×7, first 2 shown]
	ds_write_b32 v8, v23 offset:64
.LBB0_19:
	s_or_b64 exec, exec, s[0:1]
	s_movk_i32 s0, 0xf1
	v_mul_lo_u16_sdwa v0, v126, s0 dst_sel:DWORD dst_unused:UNUSED_PAD src0_sel:BYTE_0 src1_sel:DWORD
	v_lshrrev_b16_e32 v31, 12, v0
	v_mul_lo_u16_e32 v0, 17, v31
	v_sub_u16_e32 v107, v126, v0
	v_mov_b32_e32 v0, 4
	v_readlane_b32 s8, v198, 4
	v_lshlrev_b32_sdwa v1, v0, v107 dst_sel:DWORD dst_unused:UNUSED_PAD src0_sel:DWORD src1_sel:BYTE_0
	v_readlane_b32 s9, v198, 5
	s_waitcnt lgkmcnt(0)
	; wave barrier
	s_waitcnt lgkmcnt(0)
	v_add_u32_e32 v26, 0x66, v126
	v_add_u32_e32 v27, 0x99, v126
	;; [unrolled: 1-line block ×3, first 2 shown]
	global_load_dwordx4 v[6:9], v1, s[8:9]
	v_mul_lo_u16_sdwa v1, v67, s0 dst_sel:DWORD dst_unused:UNUSED_PAD src0_sel:BYTE_0 src1_sel:DWORD
	v_lshrrev_b16_e32 v110, 12, v1
	v_mul_lo_u16_e32 v1, 17, v110
	v_sub_u16_e32 v111, v67, v1
	v_lshlrev_b32_sdwa v1, v0, v111 dst_sel:DWORD dst_unused:UNUSED_PAD src0_sel:DWORD src1_sel:BYTE_0
	global_load_dwordx4 v[16:19], v1, s[8:9]
	v_mul_lo_u16_sdwa v1, v26, s0 dst_sel:DWORD dst_unused:UNUSED_PAD src0_sel:BYTE_0 src1_sel:DWORD
	v_lshrrev_b16_e32 v112, 12, v1
	v_mul_lo_u16_e32 v1, 17, v112
	v_sub_u16_e32 v113, v26, v1
	v_lshlrev_b32_sdwa v1, v0, v113 dst_sel:DWORD dst_unused:UNUSED_PAD src0_sel:DWORD src1_sel:BYTE_0
	;; [unrolled: 6-line block ×4, first 2 shown]
	v_add_u32_e32 v29, 0xff, v126
	s_mov_b32 s1, 0xf0f1
	global_load_dwordx4 v[72:75], v0, s[8:9]
	v_mul_u32_u24_sdwa v0, v29, s1 dst_sel:DWORD dst_unused:UNUSED_PAD src0_sel:WORD_0 src1_sel:DWORD
	v_lshrrev_b32_e32 v118, 20, v0
	v_mul_lo_u16_e32 v0, 17, v118
	v_sub_u16_e32 v119, v29, v0
	v_lshlrev_b32_e32 v0, 4, v119
	global_load_dwordx4 v[76:79], v0, s[8:9]
	v_mul_u32_u24_sdwa v0, v64, s1 dst_sel:DWORD dst_unused:UNUSED_PAD src0_sel:WORD_0 src1_sel:DWORD
	v_lshrrev_b32_e32 v120, 20, v0
	v_mul_lo_u16_e32 v0, 17, v120
	v_sub_u16_e32 v121, v64, v0
	v_lshlrev_b32_e32 v0, 4, v121
	;; [unrolled: 6-line block ×3, first 2 shown]
	v_add_u32_e32 v30, 0x198, v126
	global_load_dwordx4 v[84:87], v0, s[8:9]
	v_mul_u32_u24_sdwa v0, v30, s1 dst_sel:DWORD dst_unused:UNUSED_PAD src0_sel:WORD_0 src1_sel:DWORD
	v_lshrrev_b32_e32 v124, 20, v0
	v_mul_lo_u16_e32 v0, 17, v124
	v_sub_u16_e32 v125, v30, v0
	v_lshlrev_b32_e32 v0, 4, v125
	global_load_dwordx4 v[88:91], v0, s[8:9]
	ds_read2_b32 v[12:13], v62 offset1:51
	ds_read2_b32 v[0:1], v69 offset0:152 offset1:203
	ds_read2_b32 v[24:25], v68 offset0:150 offset1:201
	;; [unrolled: 1-line block ×10, first 2 shown]
	ds_read_b32 v127, v66
	ds_read2_b32 v[108:109], v68 offset0:48 offset1:99
	ds_read_b32 v128, v63
	ds_read_b32 v129, v62 offset:5304
	v_mul_u32_u24_e32 v31, 0xcc, v31
	s_waitcnt lgkmcnt(0)
	; wave barrier
	s_waitcnt lgkmcnt(0)
	s_mov_b32 s1, 0x5040100
	s_movk_i32 s0, 0xcc
	v_readlane_b32 s2, v198, 8
	s_mov_b32 s4, 0x3f5db3d7
	v_readlane_b32 s3, v198, 9
	v_readlane_b32 s10, v198, 6
	;; [unrolled: 1-line block ×3, first 2 shown]
	s_waitcnt vmcnt(8)
	v_mul_f32_e32 v130, v1, v7
	v_mul_f32_e32 v7, v39, v7
	;; [unrolled: 1-line block ×4, first 2 shown]
	v_fma_f32 v39, v39, v6, -v130
	v_fmac_f32_e32 v7, v1, v6
	v_fma_f32 v1, v60, v8, -v131
	v_fmac_f32_e32 v9, v24, v8
	s_waitcnt vmcnt(7)
	v_mul_f32_e32 v6, v36, v17
	v_mul_f32_e32 v8, v58, v17
	v_fma_f32 v6, v58, v16, -v6
	v_fmac_f32_e32 v8, v36, v16
	v_mul_f32_e32 v16, v25, v19
	v_mul_f32_e32 v17, v61, v19
	v_fma_f32 v16, v61, v18, -v16
	v_fmac_f32_e32 v17, v25, v18
	s_waitcnt vmcnt(6)
	v_mul_f32_e32 v18, v37, v21
	v_mul_f32_e32 v19, v59, v21
	v_fma_f32 v18, v59, v20, -v18
	v_fmac_f32_e32 v19, v37, v20
	v_mul_f32_e32 v20, v92, v23
	v_mul_f32_e32 v21, v56, v23
	v_fma_f32 v20, v56, v22, -v20
	v_fmac_f32_e32 v21, v92, v22
	s_waitcnt vmcnt(5)
	v_mul_f32_e32 v22, v94, v33
	v_mul_f32_e32 v23, v54, v33
	v_add_f32_e32 v61, v39, v1
	v_fma_f32 v22, v54, v32, -v22
	v_fmac_f32_e32 v23, v94, v32
	s_waitcnt vmcnt(4)
	v_mul_f32_e32 v32, v95, v73
	v_mul_f32_e32 v33, v55, v73
	v_add_f32_e32 v60, v44, v39
	v_fma_f32 v44, -0.5, v61, v44
	v_sub_f32_e32 v61, v7, v9
	v_fma_f32 v32, v55, v72, -v32
	v_fmac_f32_e32 v33, v95, v72
	v_fmamk_f32 v72, v61, 0x3f5db3d7, v44
	v_fmac_f32_e32 v44, 0xbf5db3d7, v61
	v_add_f32_e32 v61, v12, v7
	v_add_f32_e32 v7, v7, v9
	;; [unrolled: 1-line block ×3, first 2 shown]
	v_fma_f32 v12, -0.5, v7, v12
	v_sub_f32_e32 v1, v39, v1
	v_add_f32_e32 v7, v6, v16
	v_fmamk_f32 v39, v1, 0xbf5db3d7, v12
	s_waitcnt vmcnt(1)
	v_mul_f32_e32 v56, v101, v87
	v_fma_f32 v56, v49, v86, -v56
	v_mul_f32_e32 v49, v49, v87
	v_fmac_f32_e32 v12, 0x3f5db3d7, v1
	v_add_f32_e32 v1, v45, v6
	v_fmac_f32_e32 v45, -0.5, v7
	v_sub_f32_e32 v7, v8, v17
	v_fmac_f32_e32 v49, v101, v86
	v_add_f32_e32 v86, v61, v9
	v_fmamk_f32 v9, v7, 0x3f5db3d7, v45
	v_fmac_f32_e32 v45, 0xbf5db3d7, v7
	v_add_f32_e32 v7, v13, v8
	v_add_f32_e32 v87, v7, v17
	;; [unrolled: 1-line block ×3, first 2 shown]
	v_mul_f32_e32 v24, v93, v35
	v_fmac_f32_e32 v13, -0.5, v7
	v_add_f32_e32 v7, v18, v20
	v_fma_f32 v24, v57, v34, -v24
	v_mul_f32_e32 v25, v57, v35
	s_waitcnt vmcnt(0)
	v_mul_f32_e32 v57, v109, v89
	v_fma_f32 v7, -0.5, v7, v42
	v_sub_f32_e32 v8, v19, v21
	v_fmac_f32_e32 v25, v93, v34
	v_mul_f32_e32 v34, v96, v75
	v_fma_f32 v57, v47, v88, -v57
	v_mul_f32_e32 v47, v47, v89
	v_add_f32_e32 v1, v1, v16
	v_sub_f32_e32 v6, v6, v16
	v_fmamk_f32 v16, v8, 0x3f5db3d7, v7
	v_fmac_f32_e32 v7, 0xbf5db3d7, v8
	v_add_f32_e32 v8, v14, v19
	v_fma_f32 v34, v52, v74, -v34
	v_mul_f32_e32 v35, v52, v75
	v_fmac_f32_e32 v47, v109, v88
	v_fmamk_f32 v88, v6, 0xbf5db3d7, v13
	v_fmac_f32_e32 v13, 0x3f5db3d7, v6
	v_add_f32_e32 v6, v42, v18
	v_add_f32_e32 v42, v8, v21
	;; [unrolled: 1-line block ×3, first 2 shown]
	v_fmac_f32_e32 v35, v96, v74
	v_fma_f32 v14, -0.5, v8, v14
	v_sub_f32_e32 v8, v18, v20
	v_add_f32_e32 v17, v22, v24
	v_add_f32_e32 v19, v32, v34
	v_mul_f32_e32 v36, v98, v77
	v_add_f32_e32 v6, v6, v20
	v_fmamk_f32 v89, v8, 0xbf5db3d7, v14
	v_fmac_f32_e32 v14, 0x3f5db3d7, v8
	v_add_f32_e32 v8, v43, v22
	v_fmac_f32_e32 v43, -0.5, v17
	v_sub_f32_e32 v17, v23, v25
	v_fma_f32 v19, -0.5, v19, v40
	v_sub_f32_e32 v20, v33, v35
	v_fma_f32 v36, v50, v76, -v36
	v_mul_f32_e32 v37, v50, v77
	v_mul_f32_e32 v50, v97, v79
	;; [unrolled: 1-line block ×4, first 2 shown]
	v_fmamk_f32 v18, v17, 0x3f5db3d7, v43
	v_fmac_f32_e32 v43, 0xbf5db3d7, v17
	v_add_f32_e32 v17, v15, v23
	v_fmamk_f32 v21, v20, 0x3f5db3d7, v19
	v_fmac_f32_e32 v19, 0xbf5db3d7, v20
	v_add_f32_e32 v20, v10, v33
	v_fma_f32 v50, v53, v78, -v50
	v_mul_f32_e32 v52, v53, v79
	v_fma_f32 v58, v106, v90, -v58
	v_fmac_f32_e32 v59, v129, v90
	v_add_f32_e32 v90, v17, v25
	v_add_f32_e32 v17, v23, v25
	;; [unrolled: 1-line block ×4, first 2 shown]
	v_fmac_f32_e32 v37, v98, v76
	v_fmac_f32_e32 v52, v97, v78
	v_mul_f32_e32 v53, v99, v81
	v_mul_f32_e32 v54, v100, v83
	v_fma_f32 v10, -0.5, v20, v10
	v_sub_f32_e32 v20, v32, v34
	v_add_f32_e32 v25, v36, v50
	v_fma_f32 v53, v51, v80, -v53
	v_mul_f32_e32 v51, v51, v81
	v_fma_f32 v54, v48, v82, -v54
	v_mul_f32_e32 v48, v48, v83
	v_add_f32_e32 v8, v8, v24
	v_fmac_f32_e32 v15, -0.5, v17
	v_sub_f32_e32 v17, v22, v24
	v_fmamk_f32 v24, v20, 0xbf5db3d7, v10
	v_fmac_f32_e32 v10, 0x3f5db3d7, v20
	v_add_f32_e32 v20, v41, v36
	v_fmac_f32_e32 v41, -0.5, v25
	v_sub_f32_e32 v25, v37, v52
	v_add_f32_e32 v33, v37, v52
	v_fmac_f32_e32 v51, v99, v80
	v_fmac_f32_e32 v48, v100, v82
	v_fmamk_f32 v22, v17, 0xbf5db3d7, v15
	v_fmac_f32_e32 v15, 0x3f5db3d7, v17
	v_add_f32_e32 v17, v40, v32
	v_fmamk_f32 v32, v25, 0x3f5db3d7, v41
	v_fmac_f32_e32 v41, 0xbf5db3d7, v25
	v_add_f32_e32 v25, v11, v37
	v_fmac_f32_e32 v11, -0.5, v33
	v_sub_f32_e32 v33, v36, v50
	v_add_f32_e32 v35, v53, v54
	v_mul_f32_e32 v55, v108, v85
	v_add_f32_e32 v17, v17, v34
	v_fmamk_f32 v34, v33, 0xbf5db3d7, v11
	v_fmac_f32_e32 v11, 0x3f5db3d7, v33
	v_add_f32_e32 v33, v105, v53
	v_fmac_f32_e32 v105, -0.5, v35
	v_sub_f32_e32 v35, v51, v48
	v_fma_f32 v55, v46, v84, -v55
	v_mul_f32_e32 v46, v46, v85
	v_fmamk_f32 v36, v35, 0x3f5db3d7, v105
	v_fmac_f32_e32 v105, 0xbf5db3d7, v35
	v_add_f32_e32 v35, v128, v51
	v_add_f32_e32 v37, v51, v48
	v_fmac_f32_e32 v46, v108, v84
	v_add_f32_e32 v35, v35, v48
	v_fmac_f32_e32 v128, -0.5, v37
	v_sub_f32_e32 v37, v53, v54
	v_add_f32_e32 v48, v55, v56
	v_fmamk_f32 v40, v37, 0xbf5db3d7, v128
	v_fmac_f32_e32 v128, 0x3f5db3d7, v37
	v_add_f32_e32 v37, v104, v55
	v_fmac_f32_e32 v104, -0.5, v48
	v_sub_f32_e32 v48, v46, v49
	v_add_f32_e32 v20, v20, v50
	v_fmamk_f32 v50, v48, 0x3f5db3d7, v104
	v_fmac_f32_e32 v104, 0xbf5db3d7, v48
	v_add_f32_e32 v48, v127, v46
	v_add_f32_e32 v46, v46, v49
	v_fmac_f32_e32 v127, -0.5, v46
	v_sub_f32_e32 v46, v55, v56
	v_add_f32_e32 v51, v57, v58
	v_add_f32_e32 v48, v48, v49
	v_fmamk_f32 v49, v46, 0xbf5db3d7, v127
	v_fmac_f32_e32 v127, 0x3f5db3d7, v46
	v_add_f32_e32 v46, v38, v57
	v_fmac_f32_e32 v38, -0.5, v51
	v_sub_f32_e32 v51, v47, v59
	v_add_f32_e32 v25, v25, v52
	v_fmamk_f32 v52, v51, 0x3f5db3d7, v38
	v_fmac_f32_e32 v38, 0xbf5db3d7, v51
	v_add_f32_e32 v51, v0, v47
	v_add_f32_e32 v47, v47, v59
	v_fmac_f32_e32 v0, -0.5, v47
	v_sub_f32_e32 v47, v57, v58
	v_fmamk_f32 v53, v47, 0xbf5db3d7, v0
	v_fmac_f32_e32 v0, 0x3f5db3d7, v47
	v_mov_b32_e32 v47, 2
	v_add_f32_e32 v33, v33, v54
	v_lshlrev_b32_sdwa v54, v47, v107 dst_sel:DWORD dst_unused:UNUSED_PAD src0_sel:DWORD src1_sel:BYTE_0
	v_add3_u32 v31, 0, v31, v54
	ds_write2_b32 v31, v60, v72 offset1:17
	ds_write_b32 v31, v44 offset:136
	v_mul_u32_u24_e32 v44, 0xcc, v110
	v_lshlrev_b32_sdwa v54, v47, v111 dst_sel:DWORD dst_unused:UNUSED_PAD src0_sel:DWORD src1_sel:BYTE_0
	v_add3_u32 v44, 0, v44, v54
	ds_write2_b32 v44, v1, v9 offset1:17
	ds_write_b32 v44, v45 offset:136
	v_mul_u32_u24_e32 v1, 0xcc, v112
	;; [unrolled: 5-line block ×3, first 2 shown]
	v_lshlrev_b32_sdwa v7, v47, v115 dst_sel:DWORD dst_unused:UNUSED_PAD src0_sel:DWORD src1_sel:BYTE_0
	v_add3_u32 v45, 0, v6, v7
	v_mul_u32_u24_e32 v6, 0xcc, v116
	v_lshlrev_b32_sdwa v7, v47, v117 dst_sel:DWORD dst_unused:UNUSED_PAD src0_sel:DWORD src1_sel:BYTE_0
	ds_write2_b32 v45, v8, v18 offset1:17
	ds_write_b32 v45, v43 offset:136
	v_add3_u32 v43, 0, v6, v7
	v_mul_u32_u24_e32 v6, 0xcc, v118
	v_lshlrev_b32_e32 v7, 2, v119
	v_add3_u32 v47, 0, v6, v7
	v_perm_b32 v6, v122, v120, s1
	v_pk_mul_lo_u16 v6, v6, s0 op_sel_hi:[1,0]
	v_lshlrev_b32_e32 v8, 2, v121
	v_and_b32_e32 v7, 0xfffc, v6
	ds_write2_b32 v43, v17, v21 offset1:17
	ds_write_b32 v43, v19 offset:136
	ds_write2_b32 v47, v20, v32 offset1:17
	ds_write_b32 v47, v41 offset:136
	v_add3_u32 v32, 0, v7, v8
	v_lshrrev_b32_e32 v6, 16, v6
	v_lshlrev_b32_e32 v7, 2, v123
	ds_write2_b32 v32, v33, v36 offset1:17
	ds_write_b32 v32, v105 offset:136
	v_add3_u32 v33, 0, v6, v7
	v_mul_u32_u24_e32 v6, 0xcc, v124
	v_lshlrev_b32_e32 v7, 2, v125
	v_add_f32_e32 v37, v37, v56
	v_add_f32_e32 v46, v46, v58
	v_add3_u32 v36, 0, v6, v7
	ds_write2_b32 v33, v37, v50 offset1:17
	ds_write_b32 v33, v104 offset:136
	ds_write2_b32 v36, v46, v52 offset1:17
	ds_write_b32 v36, v38 offset:136
	v_add_u32_e32 v52, 0xa00, v62
	v_add_u32_e32 v54, 0x1200, v62
	v_add_f32_e32 v51, v51, v59
	s_waitcnt lgkmcnt(0)
	; wave barrier
	s_waitcnt lgkmcnt(0)
	ds_read2_b32 v[8:9], v62 offset1:51
	ds_read2_b32 v[6:7], v62 offset0:102 offset1:153
	ds_read_b32 v108, v63
	ds_read2_b32 v[60:61], v69 offset0:203 offset1:254
	ds_read2_b32 v[72:73], v71 offset0:49 offset1:100
	;; [unrolled: 1-line block ×11, first 2 shown]
	s_waitcnt lgkmcnt(0)
	; wave barrier
	s_waitcnt lgkmcnt(0)
	ds_write2_b32 v31, v86, v39 offset1:17
	ds_write_b32 v31, v12 offset:136
	ds_write2_b32 v44, v87, v88 offset1:17
	ds_write_b32 v44, v13 offset:136
	;; [unrolled: 2-line block ×9, first 2 shown]
	v_lshlrev_b32_e32 v0, 3, v126
	v_mov_b32_e32 v1, 0
	v_lshl_add_u64 v[10:11], v[0:1], 3, s[8:9]
	s_waitcnt lgkmcnt(0)
	; wave barrier
	s_waitcnt lgkmcnt(0)
	global_load_dwordx4 v[22:25], v[10:11], off offset:272
	global_load_dwordx4 v[32:35], v[10:11], off offset:288
	;; [unrolled: 1-line block ×4, first 2 shown]
	s_movk_i32 s0, 0xa1
	v_mul_lo_u16_sdwa v0, v26, s0 dst_sel:DWORD dst_unused:UNUSED_PAD src0_sel:BYTE_0 src1_sel:DWORD
	v_lshrrev_b16_e32 v0, 13, v0
	v_mul_lo_u16_e32 v0, 51, v0
	v_sub_u16_e32 v0, v26, v0
	v_and_b32_e32 v0, 0xff, v0
	v_lshlrev_b32_e32 v31, 6, v0
	ds_read2_b32 v[12:13], v62 offset1:51
	global_load_dwordx4 v[44:47], v31, s[8:9] offset:288
	global_load_dwordx4 v[48:51], v31, s[8:9] offset:272
	ds_read2_b32 v[10:11], v62 offset0:102 offset1:153
	ds_read_b32 v109, v63
	ds_read2_b32 v[14:15], v69 offset0:203 offset1:254
	ds_read2_b32 v[86:87], v71 offset0:49 offset1:100
	;; [unrolled: 1-line block ×11, first 2 shown]
	global_load_dwordx4 v[52:55], v31, s[8:9] offset:320
	global_load_dwordx4 v[56:59], v31, s[8:9] offset:304
	s_mov_b32 s0, 0xbf248dbb
	v_lshl_add_u32 v0, v0, 2, 0
	s_waitcnt lgkmcnt(0)
	; wave barrier
	s_waitcnt vmcnt(7) lgkmcnt(0)
	v_mul_f32_e32 v110, v11, v23
	v_fma_f32 v31, v7, v22, -v110
	v_mul_f32_e32 v7, v7, v23
	v_fmac_f32_e32 v7, v11, v22
	v_mul_f32_e32 v11, v109, v25
	v_fma_f32 v11, v108, v24, -v11
	v_mul_f32_e32 v108, v108, v25
	v_fmac_f32_e32 v108, v109, v24
	s_waitcnt vmcnt(6)
	v_mul_f32_e32 v109, v14, v33
	v_fma_f32 v109, v60, v32, -v109
	v_mul_f32_e32 v60, v60, v33
	v_fmac_f32_e32 v60, v14, v32
	v_mul_f32_e32 v14, v87, v35
	v_fma_f32 v14, v73, v34, -v14
	v_mul_f32_e32 v73, v73, v35
	v_fmac_f32_e32 v73, v87, v34
	s_waitcnt vmcnt(5)
	v_mul_f32_e32 v87, v88, v37
	v_fma_f32 v87, v74, v36, -v87
	v_mul_f32_e32 v74, v74, v37
	v_fmac_f32_e32 v74, v88, v36
	v_mul_f32_e32 v88, v91, v39
	v_fma_f32 v88, v21, v38, -v88
	v_mul_f32_e32 v21, v21, v39
	v_fmac_f32_e32 v21, v91, v38
	s_waitcnt vmcnt(4)
	v_mul_f32_e32 v91, v92, v41
	v_fma_f32 v91, v76, v40, -v91
	v_mul_f32_e32 v76, v76, v41
	v_fmac_f32_e32 v76, v92, v40
	v_mul_f32_e32 v92, v95, v43
	v_fma_f32 v92, v17, v42, -v92
	v_mul_f32_e32 v17, v17, v43
	v_fmac_f32_e32 v17, v95, v42
	v_mul_f32_e32 v95, v96, v23
	v_mul_f32_e32 v23, v78, v23
	v_fma_f32 v95, v78, v22, -v95
	v_fmac_f32_e32 v23, v96, v22
	v_mul_f32_e32 v22, v98, v25
	v_mul_f32_e32 v25, v80, v25
	v_fma_f32 v22, v80, v24, -v22
	;; [unrolled: 4-line block ×7, first 2 shown]
	v_fmac_f32_e32 v39, v93, v40
	v_mul_f32_e32 v40, v106, v43
	v_fma_f32 v40, v18, v42, -v40
	v_mul_f32_e32 v18, v18, v43
	v_fmac_f32_e32 v18, v106, v42
	s_waitcnt vmcnt(2)
	v_mul_f32_e32 v41, v97, v49
	v_mul_f32_e32 v42, v79, v49
	;; [unrolled: 1-line block ×4, first 2 shown]
	v_fma_f32 v49, v72, v44, -v49
	v_fmac_f32_e32 v45, v86, v44
	v_mul_f32_e32 v44, v101, v47
	v_mul_f32_e32 v47, v83, v47
	v_fma_f32 v44, v83, v46, -v44
	v_fmac_f32_e32 v47, v101, v46
	s_waitcnt vmcnt(0)
	v_mul_f32_e32 v46, v90, v57
	v_fma_f32 v46, v20, v56, -v46
	v_mul_f32_e32 v20, v20, v57
	v_fmac_f32_e32 v20, v90, v56
	v_mul_f32_e32 v56, v94, v53
	v_fma_f32 v56, v16, v52, -v56
	v_mul_f32_e32 v16, v16, v53
	v_fmac_f32_e32 v16, v94, v52
	;; [unrolled: 4-line block ×3, first 2 shown]
	v_add_f32_e32 v54, v7, v17
	v_sub_f32_e32 v7, v7, v17
	v_fma_f32 v41, v79, v48, -v41
	v_fmac_f32_e32 v42, v97, v48
	v_mul_f32_e32 v43, v99, v51
	v_mul_f32_e32 v48, v81, v51
	v_add_f32_e32 v57, v108, v76
	v_sub_f32_e32 v17, v108, v76
	v_mul_f32_e32 v72, 0x3f248dbb, v7
	v_sub_f32_e32 v76, v73, v74
	v_fma_f32 v43, v81, v50, -v43
	v_fmac_f32_e32 v48, v99, v50
	v_mul_f32_e32 v50, v105, v59
	v_mul_f32_e32 v51, v85, v59
	v_add_f32_e32 v59, v60, v21
	v_sub_f32_e32 v21, v60, v21
	v_fmac_f32_e32 v72, 0x3f7c1c5c, v17
	v_mul_f32_e32 v82, 0xbf248dbb, v76
	v_fmac_f32_e32 v72, 0x3f5db3d7, v21
	v_fmac_f32_e32 v82, 0x3f7c1c5c, v7
	;; [unrolled: 1-line block ×4, first 2 shown]
	v_add_f32_e32 v86, v76, v7
	v_mul_f32_e32 v76, 0x3f7c1c5c, v76
	v_add_f32_e32 v53, v31, v92
	v_add_f32_e32 v55, v11, v91
	v_fmac_f32_e32 v82, 0x3eaf1d44, v17
	v_sub_f32_e32 v86, v86, v17
	v_fma_f32 v17, v17, s0, -v76
	v_fma_f32 v50, v85, v58, -v50
	v_fmac_f32_e32 v51, v105, v58
	v_add_f32_e32 v58, v109, v88
	v_sub_f32_e32 v31, v31, v92
	v_add_f32_e32 v92, v55, v53
	v_add_f32_e32 v93, v57, v54
	v_fmac_f32_e32 v17, 0x3f5db3d7, v21
	v_sub_f32_e32 v11, v11, v91
	v_mul_f32_e32 v60, 0x3f248dbb, v31
	v_sub_f32_e32 v75, v14, v87
	v_fmac_f32_e32 v17, 0x3eaf1d44, v7
	v_add_f32_e32 v7, v58, v92
	v_add_f32_e32 v21, v59, v93
	v_sub_f32_e32 v61, v109, v88
	v_fmac_f32_e32 v60, 0x3f7c1c5c, v11
	v_add_f32_e32 v79, v14, v87
	v_mul_f32_e32 v81, 0xbf248dbb, v75
	v_add_f32_e32 v7, v14, v7
	v_add_f32_e32 v14, v73, v21
	v_fmac_f32_e32 v60, 0x3f5db3d7, v61
	v_add_f32_e32 v80, v73, v74
	v_fmac_f32_e32 v81, 0x3f7c1c5c, v31
	v_add_f32_e32 v7, v87, v7
	v_add_f32_e32 v14, v74, v14
	v_fmac_f32_e32 v60, 0x3eaf1d44, v75
	v_fmamk_f32 v77, v53, 0x3f441b7d, v8
	v_fmamk_f32 v78, v54, 0x3f441b7d, v12
	v_fmac_f32_e32 v81, 0xbf5db3d7, v61
	v_fmamk_f32 v83, v79, 0x3f441b7d, v8
	v_fmamk_f32 v84, v80, 0x3f441b7d, v12
	v_add_f32_e32 v85, v75, v31
	v_add_f32_e32 v90, v8, v58
	;; [unrolled: 1-line block ×3, first 2 shown]
	v_mul_f32_e32 v75, 0x3f7c1c5c, v75
	v_add_f32_e32 v7, v8, v7
	v_add_f32_e32 v21, v12, v14
	v_fmamk_f32 v8, v55, 0x3f441b7d, v8
	v_fmamk_f32 v12, v57, 0x3f441b7d, v12
	v_fmac_f32_e32 v81, 0x3eaf1d44, v11
	v_sub_f32_e32 v85, v85, v11
	v_fma_f32 v11, v11, s0, -v75
	v_fmac_f32_e32 v8, 0x3e31d0d4, v79
	v_fmac_f32_e32 v12, 0x3e31d0d4, v80
	v_fmac_f32_e32 v11, 0x3f5db3d7, v61
	v_fmac_f32_e32 v8, -0.5, v58
	v_fmac_f32_e32 v12, -0.5, v59
	v_fmac_f32_e32 v83, 0x3e31d0d4, v53
	v_fmac_f32_e32 v11, 0x3eaf1d44, v31
	v_fmac_f32_e32 v8, 0xbf708fb2, v53
	v_fmac_f32_e32 v12, 0xbf708fb2, v54
	v_fmac_f32_e32 v84, 0x3e31d0d4, v54
	v_fmac_f32_e32 v83, -0.5, v58
	v_add_f32_e32 v8, v17, v8
	v_sub_f32_e32 v31, v12, v11
	v_add_f32_e32 v14, v23, v18
	v_sub_f32_e32 v18, v23, v18
	v_fmac_f32_e32 v77, 0x3e31d0d4, v55
	v_fmac_f32_e32 v84, -0.5, v59
	v_fmac_f32_e32 v83, 0xbf708fb2, v55
	v_fma_f32 v12, -2.0, v17, v8
	v_fma_f32 v17, 2.0, v11, v31
	v_add_f32_e32 v11, v95, v40
	v_add_f32_e32 v53, v22, v38
	;; [unrolled: 1-line block ×3, first 2 shown]
	v_sub_f32_e32 v40, v95, v40
	v_sub_f32_e32 v22, v22, v38
	v_sub_f32_e32 v23, v25, v39
	v_sub_f32_e32 v24, v24, v36
	v_mul_f32_e32 v36, 0x3f248dbb, v18
	v_sub_f32_e32 v38, v32, v35
	v_fmac_f32_e32 v78, 0x3e31d0d4, v57
	v_fmac_f32_e32 v84, 0xbf708fb2, v57
	v_add_f32_e32 v54, v25, v39
	v_add_f32_e32 v57, v33, v37
	v_sub_f32_e32 v25, v33, v37
	v_mul_f32_e32 v33, 0x3f248dbb, v40
	v_fmac_f32_e32 v36, 0x3f7c1c5c, v23
	v_sub_f32_e32 v37, v15, v34
	v_mul_f32_e32 v74, 0xbf248dbb, v38
	v_fmac_f32_e32 v78, -0.5, v59
	v_fmac_f32_e32 v33, 0x3f7c1c5c, v22
	v_fmac_f32_e32 v36, 0x3f5db3d7, v25
	v_mul_f32_e32 v73, 0xbf248dbb, v37
	v_fmac_f32_e32 v74, 0x3f7c1c5c, v18
	v_fmac_f32_e32 v77, -0.5, v58
	v_fmac_f32_e32 v78, 0xbf708fb2, v80
	v_add_f32_e32 v96, v80, v93
	v_fmac_f32_e32 v33, 0x3f5db3d7, v24
	v_fmac_f32_e32 v36, 0x3eaf1d44, v38
	;; [unrolled: 1-line block ×4, first 2 shown]
	v_add_f32_e32 v80, v38, v18
	v_mul_f32_e32 v38, 0x3f7c1c5c, v38
	v_fmac_f32_e32 v77, 0xbf708fb2, v79
	v_add_f32_e32 v94, v79, v92
	v_fmac_f32_e32 v33, 0x3eaf1d44, v37
	v_fmac_f32_e32 v73, 0xbf5db3d7, v24
	;; [unrolled: 1-line block ×3, first 2 shown]
	v_add_f32_e32 v79, v37, v40
	v_sub_f32_e32 v80, v80, v23
	v_mul_f32_e32 v37, 0x3f7c1c5c, v37
	v_fma_f32 v23, v23, s0, -v38
	v_fmac_f32_e32 v90, -0.5, v94
	v_fmac_f32_e32 v73, 0x3eaf1d44, v22
	v_sub_f32_e32 v79, v79, v22
	v_add_f32_e32 v93, v53, v11
	v_add_f32_e32 v94, v54, v14
	v_fma_f32 v22, v22, s0, -v37
	v_fmac_f32_e32 v23, 0x3f5db3d7, v25
	v_fmac_f32_e32 v22, 0x3f5db3d7, v24
	;; [unrolled: 1-line block ×3, first 2 shown]
	v_add_f32_e32 v18, v55, v93
	v_add_f32_e32 v24, v57, v94
	v_add_f32_e32 v59, v15, v34
	v_add_f32_e32 v15, v15, v18
	v_add_f32_e32 v18, v32, v24
	v_add_f32_e32 v61, v32, v35
	v_add_f32_e32 v18, v35, v18
	v_fmamk_f32 v58, v14, 0x3f441b7d, v13
	v_fmamk_f32 v76, v61, 0x3f441b7d, v13
	v_add_f32_e32 v92, v13, v57
	v_add_f32_e32 v32, v13, v18
	v_fmac_f32_e32 v13, 0x3f441b7d, v54
	v_mul_f32_e32 v89, 0x3f5db3d7, v86
	v_fmac_f32_e32 v91, -0.5, v96
	v_fmac_f32_e32 v90, 0x3f5db3d7, v86
	v_add_f32_e32 v15, v34, v15
	v_fmac_f32_e32 v13, 0x3e31d0d4, v61
	v_mul_f32_e32 v88, 0x3f5db3d7, v85
	v_fmac_f32_e32 v91, 0xbf5db3d7, v85
	v_fma_f32 v85, -2.0, v89, v90
	v_fmamk_f32 v39, v11, 0x3f441b7d, v9
	v_fmamk_f32 v75, v59, 0x3f441b7d, v9
	v_add_f32_e32 v89, v9, v55
	v_add_f32_e32 v15, v9, v15
	v_fmac_f32_e32 v9, 0x3f441b7d, v53
	v_fmac_f32_e32 v13, -0.5, v57
	v_fmac_f32_e32 v22, 0x3eaf1d44, v40
	v_fmac_f32_e32 v9, 0x3e31d0d4, v59
	;; [unrolled: 1-line block ×3, first 2 shown]
	v_fmac_f32_e32 v9, -0.5, v55
	v_sub_f32_e32 v13, v13, v22
	v_fmac_f32_e32 v39, 0x3e31d0d4, v53
	v_fmac_f32_e32 v75, 0x3e31d0d4, v11
	;; [unrolled: 1-line block ×3, first 2 shown]
	v_fma_f32 v34, 2.0, v22, v13
	v_add_f32_e32 v22, v43, v56
	v_add_f32_e32 v25, v45, v51
	v_sub_f32_e32 v37, v43, v56
	v_sub_f32_e32 v40, v45, v51
	;; [unrolled: 1-line block ×3, first 2 shown]
	v_add_f32_e32 v51, v47, v20
	v_fmac_f32_e32 v39, -0.5, v55
	v_fmac_f32_e32 v76, 0x3e31d0d4, v14
	v_fmac_f32_e32 v75, -0.5, v55
	v_add_f32_e32 v9, v23, v9
	v_add_f32_e32 v14, v41, v52
	v_add_f32_e32 v18, v42, v19
	v_sub_f32_e32 v35, v41, v52
	v_sub_f32_e32 v19, v42, v19
	v_mul_f32_e32 v52, 0xbf248dbb, v43
	v_fmamk_f32 v55, v51, 0x3f441b7d, v10
	v_fma_f32 v11, -2.0, v23, v9
	v_add_f32_e32 v23, v48, v16
	v_sub_f32_e32 v16, v48, v16
	v_sub_f32_e32 v38, v49, v50
	v_mul_f32_e32 v42, 0x3f248dbb, v19
	v_sub_f32_e32 v45, v47, v20
	v_fmac_f32_e32 v52, 0x3f7c1c5c, v35
	v_fmac_f32_e32 v55, 0x3e31d0d4, v18
	;; [unrolled: 1-line block ×3, first 2 shown]
	v_mul_f32_e32 v41, 0x3f248dbb, v35
	v_fmac_f32_e32 v42, 0x3f7c1c5c, v16
	v_mul_f32_e32 v53, 0xbf248dbb, v45
	v_fmac_f32_e32 v52, 0xbf5db3d7, v38
	v_fmac_f32_e32 v55, -0.5, v25
	v_fmac_f32_e32 v41, 0x3f7c1c5c, v37
	v_fmac_f32_e32 v42, 0x3f5db3d7, v40
	v_fmac_f32_e32 v53, 0x3f7c1c5c, v19
	v_fmac_f32_e32 v52, 0x3eaf1d44, v37
	v_fmac_f32_e32 v55, 0xbf708fb2, v23
	v_fmac_f32_e32 v58, 0x3e31d0d4, v54
	v_fmac_f32_e32 v41, 0x3f5db3d7, v38
	v_fmac_f32_e32 v42, 0x3eaf1d44, v45
	v_fmac_f32_e32 v53, 0xbf5db3d7, v40
	v_sub_f32_e32 v56, v55, v52
	v_add_f32_e32 v55, v45, v19
	v_mul_f32_e32 v45, 0x3f7c1c5c, v45
	v_fmac_f32_e32 v58, -0.5, v57
	v_fmac_f32_e32 v76, -0.5, v57
	v_fmac_f32_e32 v41, 0x3eaf1d44, v43
	v_fmac_f32_e32 v53, 0x3eaf1d44, v16
	v_fma_f32 v57, 2.0, v52, v56
	v_add_f32_e32 v52, v43, v35
	v_sub_f32_e32 v55, v55, v16
	v_mul_f32_e32 v43, 0x3f7c1c5c, v43
	v_fma_f32 v16, v16, s0, -v45
	v_add_f32_e32 v95, v59, v93
	v_add_f32_e32 v24, v49, v50
	v_sub_f32_e32 v52, v52, v37
	v_add_f32_e32 v93, v22, v14
	v_fma_f32 v37, v37, s0, -v43
	v_fmac_f32_e32 v16, 0x3f5db3d7, v40
	v_add_f32_e32 v96, v61, v94
	v_add_f32_e32 v94, v23, v18
	v_fmac_f32_e32 v37, 0x3f5db3d7, v38
	v_fmac_f32_e32 v16, 0x3eaf1d44, v19
	v_add_f32_e32 v19, v24, v93
	v_fmac_f32_e32 v92, -0.5, v96
	v_fmac_f32_e32 v37, 0x3eaf1d44, v35
	v_add_f32_e32 v35, v25, v94
	v_add_f32_e32 v19, v44, v19
	v_mul_f32_e32 v87, 0x3f5db3d7, v79
	v_fmac_f32_e32 v89, -0.5, v95
	v_fmac_f32_e32 v92, 0xbf5db3d7, v79
	v_add_f32_e32 v50, v44, v46
	v_add_f32_e32 v35, v47, v35
	;; [unrolled: 1-line block ×3, first 2 shown]
	v_fma_f32 v86, 2.0, v88, v91
	v_fmac_f32_e32 v76, 0xbf708fb2, v54
	v_mul_f32_e32 v88, 0x3f5db3d7, v80
	v_fmac_f32_e32 v89, 0x3f5db3d7, v80
	v_fma_f32 v80, 2.0, v87, v92
	v_fmamk_f32 v48, v14, 0x3f441b7d, v6
	v_fmamk_f32 v54, v50, 0x3f441b7d, v6
	v_add_f32_e32 v87, v6, v24
	v_add_f32_e32 v20, v20, v35
	v_add_f32_e32 v19, v6, v19
	v_fmac_f32_e32 v6, 0x3f441b7d, v22
	v_fma_f32 v79, -2.0, v88, v89
	v_fmamk_f32 v49, v18, 0x3f441b7d, v10
	v_fmac_f32_e32 v48, 0x3e31d0d4, v22
	v_fmac_f32_e32 v54, 0x3e31d0d4, v14
	v_add_f32_e32 v88, v10, v25
	v_add_f32_e32 v20, v10, v20
	v_fmac_f32_e32 v10, 0x3f441b7d, v23
	v_fmac_f32_e32 v6, 0x3e31d0d4, v50
	v_fmac_f32_e32 v48, -0.5, v24
	v_fmac_f32_e32 v54, -0.5, v24
	v_add_f32_e32 v95, v50, v93
	v_fmac_f32_e32 v10, 0x3e31d0d4, v51
	v_fmac_f32_e32 v6, -0.5, v24
	v_fmac_f32_e32 v39, 0xbf708fb2, v59
	v_fmac_f32_e32 v48, 0xbf708fb2, v50
	v_fmac_f32_e32 v54, 0xbf708fb2, v22
	v_add_f32_e32 v96, v51, v94
	v_fmac_f32_e32 v87, -0.5, v95
	v_fmac_f32_e32 v10, -0.5, v25
	v_fmac_f32_e32 v6, 0xbf708fb2, v14
	v_add_f32_e32 v77, v72, v77
	v_add_f32_e32 v83, v82, v83
	v_fmac_f32_e32 v58, 0xbf708fb2, v61
	v_add_f32_e32 v39, v36, v39
	v_add_f32_e32 v75, v74, v75
	;; [unrolled: 3-line block ×3, first 2 shown]
	v_mul_f32_e32 v61, 0x3f5db3d7, v55
	v_fmac_f32_e32 v88, -0.5, v96
	v_fmac_f32_e32 v87, 0x3f5db3d7, v55
	v_fmac_f32_e32 v10, 0xbf708fb2, v18
	v_add_f32_e32 v6, v16, v6
	v_fma_f32 v72, -2.0, v72, v77
	v_fma_f32 v82, -2.0, v82, v83
	;; [unrolled: 1-line block ×4, first 2 shown]
	v_fmac_f32_e32 v49, -0.5, v25
	v_fma_f32 v42, -2.0, v42, v48
	v_fma_f32 v53, -2.0, v53, v54
	v_mul_f32_e32 v59, 0x3f5db3d7, v52
	v_fmac_f32_e32 v88, 0xbf5db3d7, v52
	v_fma_f32 v52, -2.0, v61, v87
	v_sub_f32_e32 v35, v10, v37
	v_fma_f32 v10, -2.0, v16, v6
	ds_write2_b32 v62, v7, v77 offset1:51
	ds_write2_b32 v62, v83, v90 offset0:102 offset1:153
	ds_write2_b32 v62, v8, v12 offset0:204 offset1:255
	;; [unrolled: 1-line block ×8, first 2 shown]
	v_add_u32_e32 v9, 0xc00, v0
	v_add_u32_e32 v44, 0xe00, v0
	;; [unrolled: 1-line block ×3, first 2 shown]
	v_fmac_f32_e32 v49, 0xbf708fb2, v51
	v_fma_f32 v40, 2.0, v37, v35
	ds_write2_b32 v9, v19, v48 offset0:150 offset1:201
	ds_write2_b32 v44, v54, v87 offset0:124 offset1:175
	;; [unrolled: 1-line block ×4, first 2 shown]
	ds_write_b32 v0, v42 offset:5304
	s_waitcnt lgkmcnt(0)
	; wave barrier
	s_waitcnt lgkmcnt(0)
	ds_read2_b32 v[52:53], v62 offset1:51
	ds_read2_b32 v[6:7], v69 offset0:152 offset1:203
	ds_read2_b32 v[54:55], v68 offset0:150 offset1:201
	;; [unrolled: 1-line block ×10, first 2 shown]
	ds_read_b32 v12, v66
	ds_read2_b32 v[10:11], v68 offset0:48 offset1:99
	ds_read_b32 v16, v63
	ds_read_b32 v8, v62 offset:5304
	v_sub_f32_e32 v78, v78, v60
	v_sub_f32_e32 v84, v84, v81
	;; [unrolled: 1-line block ×5, first 2 shown]
	v_fma_f32 v60, 2.0, v60, v78
	v_fma_f32 v81, 2.0, v81, v84
	;; [unrolled: 1-line block ×6, first 2 shown]
	s_waitcnt lgkmcnt(0)
	; wave barrier
	s_waitcnt lgkmcnt(0)
	ds_write2_b32 v62, v21, v78 offset1:51
	ds_write2_b32 v62, v84, v91 offset0:102 offset1:153
	ds_write2_b32 v62, v31, v17 offset0:204 offset1:255
	;; [unrolled: 1-line block ×12, first 2 shown]
	ds_write_b32 v0, v41 offset:5304
	s_waitcnt lgkmcnt(0)
	; wave barrier
	s_waitcnt lgkmcnt(0)
	s_and_saveexec_b64 s[0:1], s[2:3]
	s_cbranch_execz .LBB0_21
; %bb.20:
	v_lshlrev_b32_e32 v0, 1, v30
	v_lshl_add_u64 v[20:21], v[0:1], 3, s[8:9]
	v_lshlrev_b32_e32 v0, 1, v65
	v_lshl_add_u64 v[30:31], v[0:1], 3, s[8:9]
	;; [unrolled: 2-line block ×9, first 2 shown]
	global_load_dwordx4 v[68:71], v[28:29], off offset:3536
	global_load_dwordx4 v[72:75], v[26:27], off offset:3536
	v_readlane_b32 s0, v198, 10
	v_readlane_b32 s1, v198, 11
	;; [unrolled: 1-line block ×3, first 2 shown]
	v_mul_lo_u32 v5, s0, v5
	v_mul_lo_u32 v0, s1, v4
	v_mad_u64_u32 v[78:79], s[0:1], s0, v4, 0
	v_add3_u32 v79, v79, v5, v0
	v_readlane_b32 s10, v198, 2
	v_readlane_b32 s11, v198, 3
	v_add_u32_e32 v9, 0x400, v62
	ds_read_b32 v4, v62 offset:5304
	v_add_u32_e32 v46, 0x1000, v62
	v_add_u32_e32 v58, 0x800, v62
	ds_read_b32 v13, v66
	ds_read_b32 v17, v63
	ds_read2_b32 v[44:45], v62 offset0:204 offset1:255
	v_add_u32_e32 v63, 0xe00, v62
	v_lshl_add_u64 v[78:79], v[78:79], 3, s[10:11]
	v_add_u32_e32 v67, 0xc00, v62
	ds_read2_b32 v[60:61], v62 offset0:102 offset1:153
	v_add_u32_e32 v83, 0x600, v62
	ds_read2_b32 v[80:81], v62 offset1:51
	ds_read2_b32 v[26:27], v9 offset0:152 offset1:203
	ds_read2_b32 v[28:29], v67 offset0:48 offset1:99
	;; [unrolled: 1-line block ×9, first 2 shown]
	v_lshl_add_u64 v[2:3], v[2:3], 3, v[78:79]
	global_load_dwordx4 v[76:79], v[76:77], off offset:3536
	s_mov_b32 s0, 0x4763d59d
	v_mov_b32_e32 v84, v52
	v_mul_hi_u32 v0, v126, s0
	s_waitcnt lgkmcnt(8)
	v_mov_b32_e32 v52, v27
	v_mov_b32_e32 v66, v7
	;; [unrolled: 1-line block ×3, first 2 shown]
	v_lshrrev_b32_e32 v0, 7, v0
	v_add_u32_e32 v7, 51, v126
	v_mul_u32_u24_e32 v0, 0x1cb, v0
	v_mul_hi_u32 v5, v7, s0
	v_sub_u32_e32 v0, v126, v0
	v_mov_b32_e32 v85, v80
	v_lshrrev_b32_e32 v5, 7, v5
	v_lshlrev_b32_e32 v0, 3, v0
	v_mul_u32_u24_e32 v9, 0x1cb, v5
	v_lshl_add_u64 v[92:93], v[2:3], 0, v[0:1]
	s_movk_i32 s2, 0x1000
	s_movk_i32 s1, 0x561
	v_sub_u32_e32 v7, v7, v9
	v_mad_u32_u24 v0, v5, s1, v7
	v_add_co_u32_e32 v94, vcc, s2, v92
	v_lshl_add_u64 v[96:97], v[0:1], 3, v[2:3]
	s_nop 0
	v_addc_co_u32_e32 v95, vcc, 0, v93, vcc
	v_add_u32_e32 v86, 0x1cb, v0
	v_add_u32_e32 v0, 0x396, v0
	v_mov_b32_e32 v80, v53
	v_mov_b32_e32 v87, v1
	v_readlane_b32 s9, v198, 1
	s_waitcnt vmcnt(2)
	v_pk_mul_f32 v[98:99], v[68:69], v[52:53] op_sel_hi:[1,0]
	s_waitcnt lgkmcnt(0)
	v_pk_mul_f32 v[100:101], v[70:71], v[90:91] op_sel_hi:[1,0]
	v_pk_fma_f32 v[66:67], v[66:67], v[68:69], v[98:99] op_sel:[0,0,1] op_sel_hi:[1,1,0] neg_lo:[0,0,1] neg_hi:[0,0,1]
	v_pk_fma_f32 v[68:69], v[82:83], v[68:69], v[98:99] op_sel:[0,0,1] op_sel_hi:[0,1,0]
	v_pk_fma_f32 v[82:83], v[54:55], v[70:71], v[100:101] op_sel:[0,0,1] op_sel_hi:[1,1,0] neg_lo:[0,0,1] neg_hi:[0,0,1]
	v_pk_fma_f32 v[70:71], v[54:55], v[70:71], v[100:101] op_sel:[0,0,1] op_sel_hi:[0,1,0]
	v_mov_b32_e32 v67, v69
	v_mov_b32_e32 v83, v71
	v_pk_add_f32 v[68:69], v[84:85], v[66:67]
	v_pk_add_f32 v[70:71], v[66:67], v[82:83]
	v_pk_add_f32 v[66:67], v[66:67], v[82:83] neg_lo:[0,1] neg_hi:[0,1]
	v_pk_add_f32 v[68:69], v[68:69], v[82:83]
	v_pk_fma_f32 v[70:71], v[70:71], 0.5, v[84:85] op_sel_hi:[1,0,1] neg_lo:[1,0,0] neg_hi:[1,0,0]
	v_pk_mul_f32 v[66:67], v[66:67], s[4:5] op_sel_hi:[1,0]
	global_store_dwordx2 v[92:93], v[68:69], off
	v_pk_add_f32 v[68:69], v[70:71], v[66:67] op_sel:[0,1] op_sel_hi:[1,0]
	v_pk_add_f32 v[66:67], v[70:71], v[66:67] op_sel:[0,1] op_sel_hi:[1,0] neg_lo:[0,1] neg_hi:[0,1]
	v_mov_b32_e32 v70, v68
	v_mov_b32_e32 v71, v67
	;; [unrolled: 1-line block ×3, first 2 shown]
	global_store_dwordx2 v[92:93], v[70:71], off offset:3672
	global_store_dwordx2 v[94:95], v[66:67], off offset:3248
	s_waitcnt vmcnt(4)
	v_pk_mul_f32 v[82:83], v[72:73], v[88:89] op_sel_hi:[1,0]
	v_mov_b32_e32 v52, v91
	v_lshl_add_u64 v[70:71], v[0:1], 3, v[2:3]
	global_load_dwordx4 v[64:67], v[64:65], off offset:3536
	v_pk_fma_f32 v[84:85], v[50:51], v[72:73], v[82:83] op_sel:[0,0,1] op_sel_hi:[1,1,0] neg_lo:[0,0,1] neg_hi:[0,0,1]
	v_pk_fma_f32 v[72:73], v[50:51], v[72:73], v[82:83] op_sel:[0,0,1] op_sel_hi:[0,1,0]
	v_mov_b32_e32 v0, v55
	v_mov_b32_e32 v50, v55
	v_pk_mul_f32 v[54:55], v[74:75], v[52:53] op_sel_hi:[1,0]
	v_mov_b32_e32 v85, v73
	v_pk_fma_f32 v[72:73], v[0:1], v[74:75], v[54:55] op_sel:[0,0,1] op_sel_hi:[1,1,0] neg_lo:[0,0,1] neg_hi:[0,0,1]
	v_pk_fma_f32 v[54:55], v[50:51], v[74:75], v[54:55] op_sel:[0,0,1] op_sel_hi:[0,1,0]
	v_mov_b32_e32 v73, v55
	v_pk_add_f32 v[54:55], v[84:85], v[72:73]
	v_add_u32_e32 v0, 0x66, v126
	v_pk_fma_f32 v[52:53], v[54:55], 0.5, v[80:81] op_sel_hi:[1,0,1] neg_lo:[1,0,0] neg_hi:[1,0,0]
	v_pk_add_f32 v[54:55], v[84:85], v[72:73] neg_lo:[0,1] neg_hi:[0,1]
	v_mul_hi_u32 v5, v0, s0
	v_pk_mul_f32 v[54:55], v[54:55], s[4:5] op_sel_hi:[1,0]
	v_lshrrev_b32_e32 v5, 7, v5
	v_pk_add_f32 v[74:75], v[52:53], v[54:55] op_sel:[0,1] op_sel_hi:[1,0] neg_lo:[0,1] neg_hi:[0,1]
	v_pk_add_f32 v[52:53], v[52:53], v[54:55] op_sel:[0,1] op_sel_hi:[1,0]
	v_pk_add_f32 v[54:55], v[80:81], v[84:85]
	v_mul_u32_u24_e32 v7, 0x1cb, v5
	v_pk_add_f32 v[54:55], v[54:55], v[72:73]
	v_sub_u32_e32 v0, v0, v7
	v_lshl_add_u64 v[68:69], v[86:87], 3, v[2:3]
	global_store_dwordx2 v[96:97], v[54:55], off
	v_mov_b32_e32 v54, v52
	v_mov_b32_e32 v55, v75
	;; [unrolled: 1-line block ×3, first 2 shown]
	v_mad_u32_u24 v0, v5, s1, v0
	global_store_dwordx2 v[68:69], v[54:55], off
	global_store_dwordx2 v[70:71], v[74:75], off
	v_lshl_add_u64 v[54:55], v[0:1], 3, v[2:3]
	v_add_u32_e32 v52, 0x1cb, v0
	v_mov_b32_e32 v53, v1
	v_add_u32_e32 v0, 0x396, v0
	v_mov_b32_e32 v74, v89
	v_lshl_add_u64 v[68:69], v[52:53], 3, v[2:3]
	v_lshl_add_u64 v[70:71], v[0:1], 3, v[2:3]
	v_mov_b32_e32 v0, v51
	v_mov_b32_e32 v72, v51
	global_load_dwordx4 v[50:53], v[56:57], off offset:3536
	s_waitcnt vmcnt(8)
	v_pk_mul_f32 v[56:57], v[76:77], v[74:75] op_sel_hi:[1,0]
	s_nop 0
	v_pk_fma_f32 v[74:75], v[0:1], v[76:77], v[56:57] op_sel:[0,0,1] op_sel_hi:[1,1,0] neg_lo:[0,0,1] neg_hi:[0,0,1]
	v_pk_fma_f32 v[56:57], v[72:73], v[76:77], v[56:57] op_sel:[0,0,1] op_sel_hi:[0,1,0]
	v_mov_b32_e32 v75, v57
	v_pk_mul_f32 v[56:57], v[78:79], v[62:63] op_sel_hi:[1,0]
	v_add_u32_e32 v0, 0x99, v126
	v_pk_fma_f32 v[72:73], v[42:43], v[78:79], v[56:57] op_sel:[0,0,1] op_sel_hi:[1,1,0] neg_lo:[0,0,1] neg_hi:[0,0,1]
	v_pk_fma_f32 v[56:57], v[42:43], v[78:79], v[56:57] op_sel:[0,0,1] op_sel_hi:[0,1,0]
	v_mov_b32_e32 v73, v57
	v_mul_hi_u32 v5, v0, s0
	v_pk_add_f32 v[56:57], v[74:75], v[72:73]
	v_mov_b32_e32 v76, v38
	v_mov_b32_e32 v77, v60
	v_pk_add_f32 v[78:79], v[74:75], v[72:73] neg_lo:[0,1] neg_hi:[0,1]
	v_lshrrev_b32_e32 v5, 7, v5
	v_pk_fma_f32 v[56:57], v[56:57], 0.5, v[76:77] op_sel_hi:[1,0,1] neg_lo:[1,0,0] neg_hi:[1,0,0]
	v_pk_mul_f32 v[78:79], v[78:79], s[4:5] op_sel_hi:[1,0]
	v_pk_add_f32 v[74:75], v[76:77], v[74:75]
	v_mul_u32_u24_e32 v7, 0x1cb, v5
	v_pk_add_f32 v[80:81], v[56:57], v[78:79] op_sel:[0,1] op_sel_hi:[1,0] neg_lo:[0,1] neg_hi:[0,1]
	v_pk_add_f32 v[56:57], v[56:57], v[78:79] op_sel:[0,1] op_sel_hi:[1,0]
	v_pk_add_f32 v[72:73], v[74:75], v[72:73]
	v_sub_u32_e32 v0, v0, v7
	global_store_dwordx2 v[54:55], v[72:73], off
	v_mov_b32_e32 v54, v56
	v_mov_b32_e32 v55, v81
	v_mad_u32_u24 v0, v5, s1, v0
	global_store_dwordx2 v[68:69], v[54:55], off
	v_mov_b32_e32 v81, v57
	v_add_u32_e32 v54, 0x1cb, v0
	v_mov_b32_e32 v55, v1
	global_store_dwordx2 v[70:71], v[80:81], off
	v_lshl_add_u64 v[70:71], v[54:55], 3, v[2:3]
	global_load_dwordx4 v[54:57], v[48:49], off offset:3536
	v_lshl_add_u64 v[68:69], v[0:1], 3, v[2:3]
	v_add_u32_e32 v0, 0x396, v0
	v_mov_b32_e32 v38, v63
	v_lshl_add_u64 v[72:73], v[0:1], 3, v[2:3]
	s_waitcnt vmcnt(8)
	v_pk_mul_f32 v[48:49], v[64:65], v[58:59] op_sel_hi:[1,0]
	v_mov_b32_e32 v0, v43
	v_pk_fma_f32 v[74:75], v[36:37], v[64:65], v[48:49] op_sel:[0,0,1] op_sel_hi:[1,1,0] neg_lo:[0,0,1] neg_hi:[0,0,1]
	v_pk_fma_f32 v[48:49], v[36:37], v[64:65], v[48:49] op_sel:[0,0,1] op_sel_hi:[0,1,0]
	v_mov_b32_e32 v36, v43
	v_pk_mul_f32 v[42:43], v[66:67], v[38:39] op_sel_hi:[1,0]
	v_mov_b32_e32 v75, v49
	v_pk_fma_f32 v[48:49], v[0:1], v[66:67], v[42:43] op_sel:[0,0,1] op_sel_hi:[1,1,0] neg_lo:[0,0,1] neg_hi:[0,0,1]
	v_pk_fma_f32 v[42:43], v[36:37], v[66:67], v[42:43] op_sel:[0,0,1] op_sel_hi:[0,1,0]
	v_mov_b32_e32 v49, v43
	v_pk_add_f32 v[42:43], v[74:75], v[48:49]
	v_mov_b32_e32 v60, v39
	v_add_u32_e32 v0, 0xcc, v126
	v_pk_fma_f32 v[38:39], v[42:43], 0.5, v[60:61] op_sel_hi:[1,0,1] neg_lo:[1,0,0] neg_hi:[1,0,0]
	v_pk_add_f32 v[42:43], v[74:75], v[48:49] neg_lo:[0,1] neg_hi:[0,1]
	v_mul_hi_u32 v5, v0, s0
	v_pk_mul_f32 v[42:43], v[42:43], s[4:5] op_sel_hi:[1,0]
	v_lshrrev_b32_e32 v5, 7, v5
	v_pk_add_f32 v[62:63], v[38:39], v[42:43] op_sel:[0,1] op_sel_hi:[1,0] neg_lo:[0,1] neg_hi:[0,1]
	v_pk_add_f32 v[38:39], v[38:39], v[42:43] op_sel:[0,1] op_sel_hi:[1,0]
	v_pk_add_f32 v[42:43], v[60:61], v[74:75]
	v_mul_u32_u24_e32 v7, 0x1cb, v5
	v_pk_add_f32 v[42:43], v[42:43], v[48:49]
	v_sub_u32_e32 v0, v0, v7
	global_store_dwordx2 v[68:69], v[42:43], off
	v_mov_b32_e32 v42, v38
	v_mov_b32_e32 v43, v63
	;; [unrolled: 1-line block ×3, first 2 shown]
	v_mad_u32_u24 v0, v5, s1, v0
	global_store_dwordx2 v[70:71], v[42:43], off
	global_store_dwordx2 v[72:73], v[62:63], off
	v_lshl_add_u64 v[42:43], v[0:1], 3, v[2:3]
	v_add_u32_e32 v38, 0x1cb, v0
	v_mov_b32_e32 v39, v1
	v_add_u32_e32 v0, 0x396, v0
	v_mov_b32_e32 v62, v59
	v_lshl_add_u64 v[48:49], v[38:39], 3, v[2:3]
	v_lshl_add_u64 v[60:61], v[0:1], 3, v[2:3]
	v_mov_b32_e32 v0, v37
	v_mov_b32_e32 v58, v37
	global_load_dwordx4 v[36:39], v[40:41], off offset:3536
	s_waitcnt vmcnt(8)
	v_pk_mul_f32 v[40:41], v[50:51], v[62:63] op_sel_hi:[1,0]
	s_nop 0
	v_pk_fma_f32 v[62:63], v[0:1], v[50:51], v[40:41] op_sel:[0,0,1] op_sel_hi:[1,1,0] neg_lo:[0,0,1] neg_hi:[0,0,1]
	v_pk_fma_f32 v[40:41], v[58:59], v[50:51], v[40:41] op_sel:[0,0,1] op_sel_hi:[0,1,0]
	v_mov_b32_e32 v63, v41
	v_pk_mul_f32 v[40:41], v[52:53], v[46:47] op_sel_hi:[1,0]
	v_add_u32_e32 v0, 0xff, v126
	v_pk_fma_f32 v[50:51], v[24:25], v[52:53], v[40:41] op_sel:[0,0,1] op_sel_hi:[1,1,0] neg_lo:[0,0,1] neg_hi:[0,0,1]
	v_pk_fma_f32 v[40:41], v[24:25], v[52:53], v[40:41] op_sel:[0,0,1] op_sel_hi:[0,1,0]
	v_mov_b32_e32 v51, v41
	v_mul_hi_u32 v5, v0, s0
	v_pk_add_f32 v[40:41], v[62:63], v[50:51]
	v_mov_b32_e32 v52, v22
	v_mov_b32_e32 v53, v44
	v_pk_add_f32 v[58:59], v[62:63], v[50:51] neg_lo:[0,1] neg_hi:[0,1]
	v_lshrrev_b32_e32 v5, 7, v5
	v_pk_fma_f32 v[40:41], v[40:41], 0.5, v[52:53] op_sel_hi:[1,0,1] neg_lo:[1,0,0] neg_hi:[1,0,0]
	v_pk_mul_f32 v[58:59], v[58:59], s[4:5] op_sel_hi:[1,0]
	v_pk_add_f32 v[52:53], v[52:53], v[62:63]
	v_mul_u32_u24_e32 v7, 0x1cb, v5
	v_pk_add_f32 v[64:65], v[40:41], v[58:59] op_sel:[0,1] op_sel_hi:[1,0] neg_lo:[0,1] neg_hi:[0,1]
	v_pk_add_f32 v[40:41], v[40:41], v[58:59] op_sel:[0,1] op_sel_hi:[1,0]
	v_pk_add_f32 v[50:51], v[52:53], v[50:51]
	v_sub_u32_e32 v0, v0, v7
	global_store_dwordx2 v[42:43], v[50:51], off
	v_mov_b32_e32 v42, v40
	v_mov_b32_e32 v43, v65
	v_mad_u32_u24 v0, v5, s1, v0
	global_store_dwordx2 v[48:49], v[42:43], off
	v_lshl_add_u64 v[48:49], v[0:1], 3, v[2:3]
	v_add_u32_e32 v50, 0x1cb, v0
	v_mov_b32_e32 v51, v1
	v_add_u32_e32 v0, 0x396, v0
	v_mov_b32_e32 v22, v47
	s_waitcnt vmcnt(6)
	v_pk_mul_f32 v[52:53], v[54:55], v[34:35] op_sel_hi:[1,0]
	v_mov_b32_e32 v65, v41
	global_load_dwordx4 v[40:43], v[30:31], off offset:3536
	v_lshl_add_u64 v[30:31], v[50:51], 3, v[2:3]
	v_lshl_add_u64 v[50:51], v[0:1], 3, v[2:3]
	v_pk_fma_f32 v[58:59], v[18:19], v[54:55], v[52:53] op_sel:[0,0,1] op_sel_hi:[1,1,0] neg_lo:[0,0,1] neg_hi:[0,0,1]
	v_pk_fma_f32 v[52:53], v[18:19], v[54:55], v[52:53] op_sel:[0,0,1] op_sel_hi:[0,1,0]
	v_mov_b32_e32 v0, v25
	v_mov_b32_e32 v18, v25
	v_pk_mul_f32 v[24:25], v[56:57], v[22:23] op_sel_hi:[1,0]
	v_mov_b32_e32 v59, v53
	v_pk_fma_f32 v[46:47], v[0:1], v[56:57], v[24:25] op_sel:[0,0,1] op_sel_hi:[1,1,0] neg_lo:[0,0,1] neg_hi:[0,0,1]
	v_pk_fma_f32 v[24:25], v[18:19], v[56:57], v[24:25] op_sel:[0,0,1] op_sel_hi:[0,1,0]
	v_mov_b32_e32 v47, v25
	v_add_u32_e32 v0, 0x132, v126
	v_pk_add_f32 v[24:25], v[58:59], v[46:47]
	v_mov_b32_e32 v44, v23
	v_mul_hi_u32 v5, v0, s0
	v_pk_fma_f32 v[22:23], v[24:25], 0.5, v[44:45] op_sel_hi:[1,0,1] neg_lo:[1,0,0] neg_hi:[1,0,0]
	v_pk_add_f32 v[24:25], v[58:59], v[46:47] neg_lo:[0,1] neg_hi:[0,1]
	v_lshrrev_b32_e32 v5, 7, v5
	v_pk_mul_f32 v[24:25], v[24:25], s[4:5] op_sel_hi:[1,0]
	v_mul_u32_u24_e32 v7, 0x1cb, v5
	v_pk_add_f32 v[52:53], v[22:23], v[24:25] op_sel:[0,1] op_sel_hi:[1,0] neg_lo:[0,1] neg_hi:[0,1]
	v_pk_add_f32 v[22:23], v[22:23], v[24:25] op_sel:[0,1] op_sel_hi:[1,0]
	v_pk_add_f32 v[24:25], v[44:45], v[58:59]
	v_sub_u32_e32 v0, v0, v7
	v_pk_add_f32 v[24:25], v[24:25], v[46:47]
	v_mad_u32_u24 v0, v5, s1, v0
	global_store_dwordx2 v[60:61], v[64:65], off
	global_store_dwordx2 v[48:49], v[24:25], off
	v_mov_b32_e32 v24, v22
	v_mov_b32_e32 v25, v53
	;; [unrolled: 1-line block ×3, first 2 shown]
	v_add_u32_e32 v22, 0x1cb, v0
	v_mov_b32_e32 v23, v1
	global_store_dwordx2 v[30:31], v[24:25], off
	v_lshl_add_u64 v[30:31], v[22:23], 3, v[2:3]
	global_load_dwordx4 v[20:23], v[20:21], off offset:3536
	v_lshl_add_u64 v[24:25], v[0:1], 3, v[2:3]
	v_add_u32_e32 v0, 0x396, v0
	v_mov_b32_e32 v34, v35
	v_lshl_add_u64 v[44:45], v[0:1], 3, v[2:3]
	v_mov_b32_e32 v0, v19
	v_mov_b32_e32 v18, v19
	s_waitcnt vmcnt(7)
	v_pk_mul_f32 v[34:35], v[36:37], v[34:35] op_sel_hi:[1,0]
	global_store_dwordx2 v[50:51], v[52:53], off
	v_pk_fma_f32 v[46:47], v[0:1], v[36:37], v[34:35] op_sel:[0,0,1] op_sel_hi:[1,1,0] neg_lo:[0,0,1] neg_hi:[0,0,1]
	v_pk_fma_f32 v[18:19], v[18:19], v[36:37], v[34:35] op_sel:[0,0,1] op_sel_hi:[0,1,0]
	v_mov_b32_e32 v47, v19
	v_pk_mul_f32 v[18:19], v[38:39], v[32:33] op_sel_hi:[1,0]
	v_add_u32_e32 v0, 0x165, v126
	v_pk_fma_f32 v[34:35], v[14:15], v[38:39], v[18:19] op_sel:[0,0,1] op_sel_hi:[1,1,0] neg_lo:[0,0,1] neg_hi:[0,0,1]
	v_pk_fma_f32 v[18:19], v[14:15], v[38:39], v[18:19] op_sel:[0,0,1] op_sel_hi:[0,1,0]
	v_mov_b32_e32 v35, v19
	v_mul_hi_u32 v5, v0, s0
	v_pk_add_f32 v[18:19], v[46:47], v[34:35]
	v_pk_add_f32 v[36:37], v[46:47], v[34:35] neg_lo:[0,1] neg_hi:[0,1]
	v_lshrrev_b32_e32 v5, 7, v5
	v_pk_fma_f32 v[18:19], v[18:19], 0.5, v[16:17] op_sel_hi:[1,0,1] neg_lo:[1,0,0] neg_hi:[1,0,0]
	v_pk_mul_f32 v[36:37], v[36:37], s[4:5] op_sel_hi:[1,0]
	v_pk_add_f32 v[16:17], v[16:17], v[46:47]
	v_mul_u32_u24_e32 v7, 0x1cb, v5
	v_pk_add_f32 v[38:39], v[18:19], v[36:37] op_sel:[0,1] op_sel_hi:[1,0] neg_lo:[0,1] neg_hi:[0,1]
	v_pk_add_f32 v[18:19], v[18:19], v[36:37] op_sel:[0,1] op_sel_hi:[1,0]
	v_pk_add_f32 v[16:17], v[16:17], v[34:35]
	v_sub_u32_e32 v0, v0, v7
	global_store_dwordx2 v[24:25], v[16:17], off
	v_mov_b32_e32 v16, v18
	v_mov_b32_e32 v17, v39
	v_mad_u32_u24 v0, v5, s1, v0
	global_store_dwordx2 v[30:31], v[16:17], off
	v_lshl_add_u64 v[16:17], v[0:1], 3, v[2:3]
	v_add_u32_e32 v18, 0x1cb, v0
	v_add_u32_e32 v0, 0x396, v0
	v_mov_b32_e32 v14, v33
	v_lshl_add_u64 v[24:25], v[0:1], 3, v[2:3]
	v_mov_b32_e32 v0, v15
	v_mov_b32_e32 v39, v19
	;; [unrolled: 1-line block ×3, first 2 shown]
	global_store_dwordx2 v[44:45], v[38:39], off
	v_lshl_add_u64 v[18:19], v[18:19], 3, v[2:3]
	s_waitcnt vmcnt(8)
	v_pk_mul_f32 v[30:31], v[40:41], v[28:29] op_sel_hi:[1,0]
	s_nop 0
	v_pk_fma_f32 v[34:35], v[10:11], v[40:41], v[30:31] op_sel:[0,0,1] op_sel_hi:[1,1,0] neg_lo:[0,0,1] neg_hi:[0,0,1]
	v_pk_fma_f32 v[30:31], v[10:11], v[40:41], v[30:31] op_sel:[0,0,1] op_sel_hi:[0,1,0]
	v_mov_b32_e32 v10, v15
	v_pk_mul_f32 v[14:15], v[42:43], v[14:15] op_sel_hi:[1,0]
	v_mov_b32_e32 v35, v31
	v_pk_fma_f32 v[30:31], v[0:1], v[42:43], v[14:15] op_sel:[0,0,1] op_sel_hi:[1,1,0] neg_lo:[0,0,1] neg_hi:[0,0,1]
	v_pk_fma_f32 v[14:15], v[10:11], v[42:43], v[14:15] op_sel:[0,0,1] op_sel_hi:[0,1,0]
	v_add_u32_e32 v0, 0x198, v126
	v_mov_b32_e32 v31, v15
	v_mul_hi_u32 v5, v0, s0
	v_pk_add_f32 v[14:15], v[34:35], v[30:31]
	v_pk_add_f32 v[32:33], v[34:35], v[30:31] neg_lo:[0,1] neg_hi:[0,1]
	v_lshrrev_b32_e32 v5, 7, v5
	v_pk_fma_f32 v[14:15], v[14:15], 0.5, v[12:13] op_sel_hi:[1,0,1] neg_lo:[1,0,0] neg_hi:[1,0,0]
	v_pk_mul_f32 v[32:33], v[32:33], s[4:5] op_sel_hi:[1,0]
	v_pk_add_f32 v[12:13], v[12:13], v[34:35]
	v_mul_u32_u24_e32 v7, 0x1cb, v5
	v_pk_add_f32 v[36:37], v[14:15], v[32:33] op_sel:[0,1] op_sel_hi:[1,0] neg_lo:[0,1] neg_hi:[0,1]
	v_pk_add_f32 v[14:15], v[14:15], v[32:33] op_sel:[0,1] op_sel_hi:[1,0]
	v_pk_add_f32 v[12:13], v[12:13], v[30:31]
	v_sub_u32_e32 v0, v0, v7
	global_store_dwordx2 v[16:17], v[12:13], off
	v_mov_b32_e32 v12, v14
	v_mov_b32_e32 v13, v37
	v_mad_u32_u24 v0, v5, s1, v0
	global_store_dwordx2 v[18:19], v[12:13], off
	v_mov_b32_e32 v37, v15
	v_lshl_add_u64 v[12:13], v[0:1], 3, v[2:3]
	v_add_u32_e32 v14, 0x1cb, v0
	v_mov_b32_e32 v15, v1
	v_add_u32_e32 v0, 0x396, v0
	v_mov_b32_e32 v16, v29
	v_lshl_add_u64 v[14:15], v[14:15], 3, v[2:3]
	v_lshl_add_u64 v[0:1], v[0:1], 3, v[2:3]
	v_mov_b32_e32 v2, v11
	v_mov_b32_e32 v10, v11
	s_waitcnt vmcnt(6)
	v_pk_mul_f32 v[16:17], v[20:21], v[16:17] op_sel_hi:[1,0]
	v_pk_mul_f32 v[4:5], v[22:23], v[4:5] op_sel_hi:[1,0]
	v_pk_fma_f32 v[2:3], v[2:3], v[20:21], v[16:17] op_sel:[0,0,1] op_sel_hi:[1,1,0] neg_lo:[0,0,1] neg_hi:[0,0,1]
	v_pk_fma_f32 v[10:11], v[10:11], v[20:21], v[16:17] op_sel:[0,0,1] op_sel_hi:[0,1,0]
	v_mov_b32_e32 v3, v11
	v_pk_fma_f32 v[10:11], v[8:9], v[22:23], v[4:5] op_sel:[0,0,1] op_sel_hi:[1,1,0] neg_lo:[0,0,1] neg_hi:[0,0,1]
	v_pk_fma_f32 v[4:5], v[8:9], v[22:23], v[4:5] op_sel:[0,0,1] op_sel_hi:[0,1,0]
	v_mov_b32_e32 v11, v5
	v_pk_add_f32 v[4:5], v[2:3], v[10:11]
	v_mov_b32_e32 v7, v26
	v_pk_add_f32 v[8:9], v[2:3], v[10:11] neg_lo:[0,1] neg_hi:[0,1]
	v_pk_fma_f32 v[4:5], v[4:5], 0.5, v[6:7] op_sel_hi:[1,0,1] neg_lo:[1,0,0] neg_hi:[1,0,0]
	v_pk_mul_f32 v[8:9], v[8:9], s[4:5] op_sel_hi:[1,0]
	v_pk_add_f32 v[2:3], v[6:7], v[2:3]
	v_pk_add_f32 v[16:17], v[4:5], v[8:9] op_sel:[0,1] op_sel_hi:[1,0] neg_lo:[0,1] neg_hi:[0,1]
	v_pk_add_f32 v[4:5], v[4:5], v[8:9] op_sel:[0,1] op_sel_hi:[1,0]
	v_pk_add_f32 v[2:3], v[2:3], v[10:11]
	global_store_dwordx2 v[24:25], v[36:37], off
	global_store_dwordx2 v[12:13], v[2:3], off
	v_mov_b32_e32 v2, v4
	v_mov_b32_e32 v3, v17
	;; [unrolled: 1-line block ×3, first 2 shown]
	global_store_dwordx2 v[14:15], v[2:3], off
	global_store_dwordx2 v[0:1], v[16:17], off
.LBB0_21:
	s_endpgm
	.section	.rodata,"a",@progbits
	.p2align	6, 0x0
	.amdhsa_kernel fft_rtc_fwd_len1377_factors_17_3_9_3_wgs_51_tpt_51_halfLds_sp_op_CI_CI_unitstride_sbrr_dirReg
		.amdhsa_group_segment_fixed_size 0
		.amdhsa_private_segment_fixed_size 0
		.amdhsa_kernarg_size 104
		.amdhsa_user_sgpr_count 2
		.amdhsa_user_sgpr_dispatch_ptr 0
		.amdhsa_user_sgpr_queue_ptr 0
		.amdhsa_user_sgpr_kernarg_segment_ptr 1
		.amdhsa_user_sgpr_dispatch_id 0
		.amdhsa_user_sgpr_kernarg_preload_length 0
		.amdhsa_user_sgpr_kernarg_preload_offset 0
		.amdhsa_user_sgpr_private_segment_size 0
		.amdhsa_uses_dynamic_stack 0
		.amdhsa_enable_private_segment 0
		.amdhsa_system_sgpr_workgroup_id_x 1
		.amdhsa_system_sgpr_workgroup_id_y 0
		.amdhsa_system_sgpr_workgroup_id_z 0
		.amdhsa_system_sgpr_workgroup_info 0
		.amdhsa_system_vgpr_workitem_id 0
		.amdhsa_next_free_vgpr 199
		.amdhsa_next_free_sgpr 100
		.amdhsa_accum_offset 200
		.amdhsa_reserve_vcc 1
		.amdhsa_float_round_mode_32 0
		.amdhsa_float_round_mode_16_64 0
		.amdhsa_float_denorm_mode_32 3
		.amdhsa_float_denorm_mode_16_64 3
		.amdhsa_dx10_clamp 1
		.amdhsa_ieee_mode 1
		.amdhsa_fp16_overflow 0
		.amdhsa_tg_split 0
		.amdhsa_exception_fp_ieee_invalid_op 0
		.amdhsa_exception_fp_denorm_src 0
		.amdhsa_exception_fp_ieee_div_zero 0
		.amdhsa_exception_fp_ieee_overflow 0
		.amdhsa_exception_fp_ieee_underflow 0
		.amdhsa_exception_fp_ieee_inexact 0
		.amdhsa_exception_int_div_zero 0
	.end_amdhsa_kernel
	.text
.Lfunc_end0:
	.size	fft_rtc_fwd_len1377_factors_17_3_9_3_wgs_51_tpt_51_halfLds_sp_op_CI_CI_unitstride_sbrr_dirReg, .Lfunc_end0-fft_rtc_fwd_len1377_factors_17_3_9_3_wgs_51_tpt_51_halfLds_sp_op_CI_CI_unitstride_sbrr_dirReg
                                        ; -- End function
	.section	.AMDGPU.csdata,"",@progbits
; Kernel info:
; codeLenInByte = 19804
; NumSgprs: 106
; NumVgprs: 199
; NumAgprs: 0
; TotalNumVgprs: 199
; ScratchSize: 0
; MemoryBound: 0
; FloatMode: 240
; IeeeMode: 1
; LDSByteSize: 0 bytes/workgroup (compile time only)
; SGPRBlocks: 13
; VGPRBlocks: 24
; NumSGPRsForWavesPerEU: 106
; NumVGPRsForWavesPerEU: 199
; AccumOffset: 200
; Occupancy: 2
; WaveLimiterHint : 1
; COMPUTE_PGM_RSRC2:SCRATCH_EN: 0
; COMPUTE_PGM_RSRC2:USER_SGPR: 2
; COMPUTE_PGM_RSRC2:TRAP_HANDLER: 0
; COMPUTE_PGM_RSRC2:TGID_X_EN: 1
; COMPUTE_PGM_RSRC2:TGID_Y_EN: 0
; COMPUTE_PGM_RSRC2:TGID_Z_EN: 0
; COMPUTE_PGM_RSRC2:TIDIG_COMP_CNT: 0
; COMPUTE_PGM_RSRC3_GFX90A:ACCUM_OFFSET: 49
; COMPUTE_PGM_RSRC3_GFX90A:TG_SPLIT: 0
	.text
	.p2alignl 6, 3212836864
	.fill 256, 4, 3212836864
	.type	__hip_cuid_bafeee6405e547e6,@object ; @__hip_cuid_bafeee6405e547e6
	.section	.bss,"aw",@nobits
	.globl	__hip_cuid_bafeee6405e547e6
__hip_cuid_bafeee6405e547e6:
	.byte	0                               ; 0x0
	.size	__hip_cuid_bafeee6405e547e6, 1

	.ident	"AMD clang version 19.0.0git (https://github.com/RadeonOpenCompute/llvm-project roc-6.4.0 25133 c7fe45cf4b819c5991fe208aaa96edf142730f1d)"
	.section	".note.GNU-stack","",@progbits
	.addrsig
	.addrsig_sym __hip_cuid_bafeee6405e547e6
	.amdgpu_metadata
---
amdhsa.kernels:
  - .agpr_count:     0
    .args:
      - .actual_access:  read_only
        .address_space:  global
        .offset:         0
        .size:           8
        .value_kind:     global_buffer
      - .offset:         8
        .size:           8
        .value_kind:     by_value
      - .actual_access:  read_only
        .address_space:  global
        .offset:         16
        .size:           8
        .value_kind:     global_buffer
      - .actual_access:  read_only
        .address_space:  global
        .offset:         24
        .size:           8
        .value_kind:     global_buffer
      - .actual_access:  read_only
        .address_space:  global
        .offset:         32
        .size:           8
        .value_kind:     global_buffer
      - .offset:         40
        .size:           8
        .value_kind:     by_value
      - .actual_access:  read_only
        .address_space:  global
        .offset:         48
        .size:           8
        .value_kind:     global_buffer
      - .actual_access:  read_only
        .address_space:  global
        .offset:         56
        .size:           8
        .value_kind:     global_buffer
      - .offset:         64
        .size:           4
        .value_kind:     by_value
      - .actual_access:  read_only
        .address_space:  global
        .offset:         72
        .size:           8
        .value_kind:     global_buffer
      - .actual_access:  read_only
        .address_space:  global
        .offset:         80
        .size:           8
        .value_kind:     global_buffer
      - .actual_access:  read_only
        .address_space:  global
        .offset:         88
        .size:           8
        .value_kind:     global_buffer
      - .actual_access:  write_only
        .address_space:  global
        .offset:         96
        .size:           8
        .value_kind:     global_buffer
    .group_segment_fixed_size: 0
    .kernarg_segment_align: 8
    .kernarg_segment_size: 104
    .language:       OpenCL C
    .language_version:
      - 2
      - 0
    .max_flat_workgroup_size: 51
    .name:           fft_rtc_fwd_len1377_factors_17_3_9_3_wgs_51_tpt_51_halfLds_sp_op_CI_CI_unitstride_sbrr_dirReg
    .private_segment_fixed_size: 0
    .sgpr_count:     106
    .sgpr_spill_count: 30
    .symbol:         fft_rtc_fwd_len1377_factors_17_3_9_3_wgs_51_tpt_51_halfLds_sp_op_CI_CI_unitstride_sbrr_dirReg.kd
    .uniform_work_group_size: 1
    .uses_dynamic_stack: false
    .vgpr_count:     199
    .vgpr_spill_count: 0
    .wavefront_size: 64
amdhsa.target:   amdgcn-amd-amdhsa--gfx950
amdhsa.version:
  - 1
  - 2
...

	.end_amdgpu_metadata
